;; amdgpu-corpus repo=ROCm/rocFFT kind=compiled arch=gfx1030 opt=O3
	.text
	.amdgcn_target "amdgcn-amd-amdhsa--gfx1030"
	.amdhsa_code_object_version 6
	.protected	bluestein_single_fwd_len1176_dim1_sp_op_CI_CI ; -- Begin function bluestein_single_fwd_len1176_dim1_sp_op_CI_CI
	.globl	bluestein_single_fwd_len1176_dim1_sp_op_CI_CI
	.p2align	8
	.type	bluestein_single_fwd_len1176_dim1_sp_op_CI_CI,@function
bluestein_single_fwd_len1176_dim1_sp_op_CI_CI: ; @bluestein_single_fwd_len1176_dim1_sp_op_CI_CI
; %bb.0:
	s_load_dwordx4 s[12:15], s[4:5], 0x28
	v_mul_u32_u24_e32 v1, 0x493, v0
	v_mov_b32_e32 v137, 0
	s_mov_b32 s0, exec_lo
	v_lshrrev_b32_e32 v1, 16, v1
	v_add_nc_u32_e32 v136, s6, v1
	s_waitcnt lgkmcnt(0)
	v_cmpx_gt_u64_e64 s[12:13], v[136:137]
	s_cbranch_execz .LBB0_31
; %bb.1:
	s_clause 0x1
	s_load_dwordx4 s[0:3], s[4:5], 0x18
	s_load_dwordx2 s[12:13], s[4:5], 0x0
	v_mul_lo_u16 v1, v1, 56
	v_sub_nc_u16 v2, v0, v1
	v_and_b32_e32 v173, 0xffff, v2
	v_lshlrev_b32_e32 v171, 3, v173
	v_or_b32_e32 v172, 0x1c0, v173
	s_waitcnt lgkmcnt(0)
	s_load_dwordx4 s[8:11], s[0:1], 0x0
	s_clause 0x4
	global_load_dwordx2 v[161:162], v171, s[12:13]
	global_load_dwordx2 v[157:158], v171, s[12:13] offset:448
	global_load_dwordx2 v[153:154], v171, s[12:13] offset:896
	global_load_dwordx2 v[145:146], v171, s[12:13] offset:1344
	global_load_dwordx2 v[141:142], v171, s[12:13] offset:1792
	v_add_co_u32 v43, s0, s12, v171
	v_add_co_ci_u32_e64 v44, null, s13, 0, s0
	v_lshlrev_b32_e32 v78, 3, v172
	v_add_co_u32 v120, vcc_lo, 0x1000, v43
	v_add_co_ci_u32_e32 v121, vcc_lo, 0, v44, vcc_lo
	v_add_co_u32 v5, vcc_lo, 0x1800, v43
	v_add_co_ci_u32_e32 v6, vcc_lo, 0, v44, vcc_lo
	s_clause 0x4
	global_load_dwordx2 v[124:125], v78, s[12:13]
	global_load_dwordx2 v[163:164], v[120:121], off offset:608
	global_load_dwordx2 v[159:160], v[120:121], off offset:1056
	global_load_dwordx2 v[155:156], v[120:121], off offset:1504
	global_load_dwordx2 v[147:148], v[120:121], off offset:1952
	v_add_nc_u32_e32 v53, 0x1400, v171
	v_add_nc_u32_e32 v54, 0x1c00, v171
	s_waitcnt lgkmcnt(0)
	v_mad_u64_u32 v[0:1], null, s10, v136, 0
	v_mad_u64_u32 v[3:4], null, s8, v173, 0
	s_mul_i32 s1, s9, 0x24c
	s_mul_hi_u32 s7, s8, 0x24c
	s_mul_i32 s0, s8, 0x24c
	s_add_i32 s1, s7, s1
	v_mad_u64_u32 v[7:8], null, s11, v136, v[1:2]
	v_mad_u64_u32 v[8:9], null, s9, v173, v[4:5]
	;; [unrolled: 1-line block ×3, first 2 shown]
	s_mul_hi_u32 s11, s8, 0xfffffdec
	s_lshl_b64 s[16:17], s[0:1], 3
	v_mov_b32_e32 v1, v7
	s_mul_i32 s10, s9, 0xfffffdec
	v_mov_b32_e32 v4, v8
	s_sub_i32 s7, s11, s8
	s_mul_i32 s6, s8, 0xfffffdec
	v_lshlrev_b64 v[0:1], 3, v[0:1]
	s_add_i32 s7, s7, s10
	v_lshlrev_b64 v[3:4], 3, v[3:4]
	s_lshl_b64 s[0:1], s[6:7], 3
	v_mov_b32_e32 v7, v10
	v_add_co_u32 v19, vcc_lo, s14, v0
	v_add_co_ci_u32_e32 v20, vcc_lo, s15, v1, vcc_lo
	v_mad_u64_u32 v[7:8], null, s9, v172, v[7:8]
	v_add_co_u32 v0, vcc_lo, v19, v3
	v_add_co_ci_u32_e32 v1, vcc_lo, v20, v4, vcc_lo
	v_add_co_u32 v3, vcc_lo, v0, s16
	v_add_co_ci_u32_e32 v4, vcc_lo, s17, v1, vcc_lo
	v_mov_b32_e32 v10, v7
	v_add_co_u32 v11, vcc_lo, v3, s0
	v_add_co_ci_u32_e32 v12, vcc_lo, s1, v4, vcc_lo
	v_lshlrev_b64 v[9:10], 3, v[9:10]
	v_add_co_u32 v13, vcc_lo, v11, s16
	v_add_co_ci_u32_e32 v14, vcc_lo, s17, v12, vcc_lo
	global_load_dwordx2 v[21:22], v[0:1], off
	v_add_co_u32 v15, vcc_lo, v13, s0
	v_add_co_ci_u32_e32 v16, vcc_lo, s1, v14, vcc_lo
	v_add_co_u32 v7, vcc_lo, v15, s16
	v_add_co_ci_u32_e32 v8, vcc_lo, s17, v16, vcc_lo
	v_add_co_u32 v17, vcc_lo, v7, s0
	v_add_co_ci_u32_e32 v18, vcc_lo, s1, v8, vcc_lo
	v_add_co_u32 v9, vcc_lo, v19, v9
	v_add_co_ci_u32_e32 v10, vcc_lo, v20, v10, vcc_lo
	v_add_co_u32 v19, vcc_lo, v17, s16
	v_add_co_ci_u32_e32 v20, vcc_lo, s17, v18, vcc_lo
	global_load_dwordx2 v[9:10], v[9:10], off
	v_add_co_u32 v0, vcc_lo, v19, s0
	v_add_co_ci_u32_e32 v1, vcc_lo, s1, v20, vcc_lo
	s_clause 0x2
	global_load_dwordx2 v[25:26], v[3:4], off
	global_load_dwordx2 v[11:12], v[11:12], off
	;; [unrolled: 1-line block ×3, first 2 shown]
	v_add_co_u32 v23, vcc_lo, v0, s16
	v_add_co_ci_u32_e32 v24, vcc_lo, s17, v1, vcc_lo
	global_load_dwordx2 v[35:36], v[0:1], off
	v_add_co_u32 v3, vcc_lo, v23, s0
	v_add_co_ci_u32_e32 v4, vcc_lo, s1, v24, vcc_lo
	global_load_dwordx2 v[7:8], v[7:8], off
	;; [unrolled: 3-line block ×6, first 2 shown]
	v_add_co_u32 v0, vcc_lo, v33, s16
	v_add_co_ci_u32_e32 v1, vcc_lo, s17, v34, vcc_lo
	v_add_co_u32 v37, vcc_lo, 0x800, v43
	v_add_co_ci_u32_e32 v38, vcc_lo, 0, v44, vcc_lo
	v_mad_u64_u32 v[39:40], null, 0x1c0, s8, v[0:1]
	s_clause 0x1
	global_load_dwordx2 v[151:152], v[5:6], off offset:352
	global_load_dwordx2 v[149:150], v[37:38], off offset:192
	global_load_dwordx2 v[41:42], v[3:4], off
	global_load_dwordx2 v[139:140], v[5:6], off offset:800
	global_load_dwordx2 v[27:28], v[27:28], off
	v_add_co_u32 v122, vcc_lo, 0x2000, v43
	global_load_dwordx2 v[137:138], v[5:6], off offset:1248
	global_load_dwordx2 v[31:32], v[31:32], off
	v_add_co_ci_u32_e32 v123, vcc_lo, 0, v44, vcc_lo
	v_mov_b32_e32 v3, v40
	global_load_dwordx2 v[29:30], v[29:30], off
	s_clause 0x3
	global_load_dwordx2 v[143:144], v[37:38], off offset:640
	global_load_dwordx2 v[134:135], v[37:38], off offset:1088
	;; [unrolled: 1-line block ×4, first 2 shown]
	global_load_dwordx2 v[33:34], v[33:34], off
	global_load_dwordx2 v[43:44], v[0:1], off
	v_add_nc_u32_e32 v6, 0x1000, v171
	v_add_nc_u32_e32 v5, 0x400, v171
	v_mad_u64_u32 v[3:4], null, 0x1c0, s9, v[3:4]
	v_mov_b32_e32 v40, v3
	v_add_co_u32 v3, vcc_lo, v39, s0
	v_add_co_ci_u32_e32 v4, vcc_lo, s1, v40, vcc_lo
	v_add_co_u32 v0, vcc_lo, v3, s16
	global_load_dwordx2 v[39:40], v[39:40], off
	v_add_co_ci_u32_e32 v1, vcc_lo, s17, v4, vcc_lo
	global_load_dwordx2 v[126:127], v[37:38], off offset:1984
	global_load_dwordx2 v[37:38], v[3:4], off
	global_load_dwordx2 v[128:129], v[122:123], off offset:544
	global_load_dwordx2 v[45:46], v[0:1], off
	s_load_dwordx2 s[6:7], s[4:5], 0x38
	s_load_dwordx4 s[8:11], s[2:3], 0x0
	v_add_nc_u32_e32 v4, 0x1800, v171
	v_add_nc_u32_e32 v3, 0x800, v171
	v_cmp_gt_u16_e32 vcc_lo, 28, v2
	s_waitcnt vmcnt(29)
	v_mul_f32_e32 v47, v22, v162
	v_mul_f32_e32 v48, v21, v162
	v_fmac_f32_e32 v47, v21, v161
	v_fma_f32 v48, v22, v161, -v48
	s_waitcnt vmcnt(28)
	v_mul_f32_e32 v49, v10, v125
	v_mul_f32_e32 v50, v9, v125
	s_waitcnt vmcnt(27)
	v_mul_f32_e32 v21, v26, v164
	v_mul_f32_e32 v22, v25, v164
	;; [unrolled: 3-line block ×3, first 2 shown]
	v_fmac_f32_e32 v49, v9, v124
	v_fmac_f32_e32 v21, v25, v163
	v_fma_f32 v22, v26, v163, -v22
	v_fmac_f32_e32 v51, v11, v157
	v_fma_f32 v52, v12, v157, -v52
	s_waitcnt vmcnt(25)
	v_mul_f32_e32 v9, v14, v160
	v_fma_f32 v50, v10, v124, -v50
	v_mul_f32_e32 v10, v13, v160
	s_waitcnt vmcnt(23)
	v_mul_f32_e32 v11, v8, v156
	v_mul_f32_e32 v12, v7, v156
	ds_write_b64 v171, v[21:22] offset:4704
	v_fmac_f32_e32 v9, v13, v159
	v_fma_f32 v10, v14, v159, -v10
	s_waitcnt vmcnt(22)
	v_mul_f32_e32 v13, v16, v154
	v_mul_f32_e32 v21, v15, v154
	v_fmac_f32_e32 v11, v7, v155
	v_fma_f32 v12, v8, v155, -v12
	ds_write2_b64 v171, v[47:48], v[51:52] offset1:56
	s_waitcnt vmcnt(21)
	v_mul_f32_e32 v7, v18, v146
	v_mul_f32_e32 v8, v17, v146
	v_fmac_f32_e32 v13, v15, v153
	v_fma_f32 v14, v16, v153, -v21
	ds_write2_b64 v6, v[9:10], v[11:12] offset0:132 offset1:188
	s_waitcnt vmcnt(20)
	v_mul_f32_e32 v9, v20, v148
	v_mul_f32_e32 v10, v19, v148
	v_fmac_f32_e32 v7, v17, v145
	v_mul_f32_e32 v11, v36, v142
	v_fma_f32 v8, v18, v145, -v8
	v_mul_f32_e32 v12, v35, v142
	v_fmac_f32_e32 v9, v19, v147
	v_fma_f32 v10, v20, v147, -v10
	v_fmac_f32_e32 v11, v35, v141
	v_fma_f32 v12, v36, v141, -v12
	s_waitcnt vmcnt(18)
	v_mul_f32_e32 v15, v24, v152
	v_mul_f32_e32 v16, v23, v152
	s_waitcnt vmcnt(16)
	v_mul_f32_e32 v17, v42, v150
	v_mul_f32_e32 v18, v41, v150
	s_waitcnt vmcnt(14)
	v_mul_f32_e32 v19, v28, v140
	v_fmac_f32_e32 v15, v23, v151
	v_fma_f32 v16, v24, v151, -v16
	v_fmac_f32_e32 v17, v41, v149
	v_fma_f32 v18, v42, v149, -v18
	ds_write2_b64 v171, v[13:14], v[7:8] offset0:112 offset1:168
	ds_write2_b64 v53, v[9:10], v[15:16] offset0:116 offset1:172
	v_mul_f32_e32 v8, v27, v140
	s_waitcnt vmcnt(12)
	v_mul_f32_e32 v7, v32, v138
	v_mul_f32_e32 v10, v31, v138
	ds_write2_b64 v5, v[11:12], v[17:18] offset0:96 offset1:152
	s_waitcnt vmcnt(10)
	v_mul_f32_e32 v11, v29, v144
	v_fmac_f32_e32 v19, v27, v139
	v_fma_f32 v20, v28, v139, -v8
	v_fmac_f32_e32 v7, v31, v137
	v_fma_f32 v8, v32, v137, -v10
	v_mul_f32_e32 v9, v30, v144
	v_fma_f32 v10, v30, v143, -v11
	s_waitcnt vmcnt(6)
	v_mul_f32_e32 v11, v34, v135
	v_mul_f32_e32 v12, v33, v135
	ds_write2_b64 v4, v[19:20], v[7:8] offset0:100 offset1:156
	s_waitcnt vmcnt(5)
	v_mul_f32_e32 v7, v44, v133
	v_mul_f32_e32 v8, v43, v133
	v_fmac_f32_e32 v9, v29, v143
	v_fmac_f32_e32 v11, v33, v134
	v_fma_f32 v12, v34, v134, -v12
	v_fmac_f32_e32 v7, v43, v132
	v_fma_f32 v8, v44, v132, -v8
	s_waitcnt vmcnt(4)
	v_mul_f32_e32 v13, v40, v131
	v_mul_f32_e32 v14, v39, v131
	s_waitcnt vmcnt(2)
	v_mul_f32_e32 v15, v38, v127
	v_mul_f32_e32 v16, v37, v127
	;; [unrolled: 3-line block ×3, first 2 shown]
	v_fmac_f32_e32 v13, v39, v130
	v_fma_f32 v14, v40, v130, -v14
	v_fmac_f32_e32 v15, v37, v126
	v_fma_f32 v16, v38, v126, -v16
	;; [unrolled: 2-line block ×3, first 2 shown]
	ds_write2_b64 v3, v[9:10], v[11:12] offset0:80 offset1:136
	ds_write2_b64 v54, v[7:8], v[13:14] offset0:84 offset1:140
	;; [unrolled: 1-line block ×3, first 2 shown]
	ds_write_b64 v171, v[17:18] offset:8736
	s_and_saveexec_b32 s2, vcc_lo
	s_cbranch_execz .LBB0_3
; %bb.2:
	v_add_co_u32 v0, s0, v0, s0
	v_add_co_ci_u32_e64 v1, s0, s1, v1, s0
	v_add_co_u32 v7, s0, v0, s16
	v_add_co_ci_u32_e64 v8, s0, s17, v1, s0
	global_load_dwordx2 v[0:1], v[0:1], off
	s_clause 0x1
	global_load_dwordx2 v[9:10], v[120:121], off offset:384
	global_load_dwordx2 v[11:12], v[122:123], off offset:992
	global_load_dwordx2 v[7:8], v[7:8], off
	s_waitcnt vmcnt(2)
	v_mul_f32_e32 v13, v1, v10
	v_mul_f32_e32 v2, v0, v10
	s_waitcnt vmcnt(0)
	v_mul_f32_e32 v10, v8, v12
	v_mul_f32_e32 v12, v7, v12
	v_fmac_f32_e32 v13, v0, v9
	v_fma_f32 v14, v1, v9, -v2
	v_fmac_f32_e32 v10, v7, v11
	v_fma_f32 v11, v8, v11, -v12
	ds_write_b64 v171, v[13:14] offset:4480
	ds_write_b64 v171, v[10:11] offset:9184
.LBB0_3:
	s_or_b32 exec_lo, exec_lo, s2
	v_add_nc_u32_e32 v0, 0x2000, v171
	s_waitcnt lgkmcnt(0)
	s_barrier
	buffer_gl0_inv
	ds_read2_b64 v[23:26], v171 offset1:56
	ds_read2_b64 v[35:38], v6 offset0:76 offset1:132
	ds_read2_b64 v[11:14], v171 offset0:112 offset1:168
	;; [unrolled: 1-line block ×9, first 2 shown]
                                        ; implicit-def: $vgpr43
                                        ; implicit-def: $vgpr0
	s_and_saveexec_b32 s0, vcc_lo
	s_cbranch_execz .LBB0_5
; %bb.4:
	ds_read_b64 v[0:1], v171 offset:4480
	ds_read_b64 v[43:44], v171 offset:9184
.LBB0_5:
	s_or_b32 exec_lo, exec_lo, s0
	s_load_dwordx2 s[0:1], s[4:5], 0x8
	v_add_co_u32 v46, s2, v173, 56
	s_waitcnt lgkmcnt(0)
	v_sub_f32_e32 v54, v23, v35
	v_sub_f32_e32 v55, v24, v36
	;; [unrolled: 1-line block ×8, first 2 shown]
	v_add_co_ci_u32_e64 v2, null, 0, 0, s2
	v_add_co_u32 v45, s2, 0x70, v173
	v_sub_f32_e32 v65, v7, v39
	v_sub_f32_e32 v66, v8, v40
	v_add_co_ci_u32_e64 v2, null, 0, 0, s2
	v_add_co_u32 v47, null, 0xa8, v173
	v_add_co_u32 v48, null, 0xe0, v173
	;; [unrolled: 1-line block ×4, first 2 shown]
	v_lshlrev_b32_e32 v51, 1, v173
	v_add_co_u32 v58, null, 0x230, v173
	v_fma_f32 v52, v23, 2.0, -v54
	v_fma_f32 v53, v24, 2.0, -v55
	;; [unrolled: 1-line block ×6, first 2 shown]
	v_sub_f32_e32 v62, v14, v30
	v_fma_f32 v59, v13, 2.0, -v61
	v_sub_f32_e32 v11, v9, v41
	v_sub_f32_e32 v12, v10, v42
	v_sub_f32_e32 v31, v19, v31
	v_sub_f32_e32 v32, v20, v32
	v_fma_f32 v13, v3, 2.0, -v15
	v_sub_f32_e32 v2, v0, v43
	v_sub_f32_e32 v3, v1, v44
	v_lshlrev_b32_e32 v119, 4, v173
	v_sub_f32_e32 v23, v21, v33
	v_sub_f32_e32 v24, v22, v34
	;; [unrolled: 1-line block ×3, first 2 shown]
	v_fma_f32 v63, v7, 2.0, -v65
	v_fma_f32 v64, v8, 2.0, -v66
	v_sub_f32_e32 v7, v5, v17
	v_sub_f32_e32 v8, v6, v18
	v_fma_f32 v60, v14, 2.0, -v62
	v_fma_f32 v9, v9, 2.0, -v11
	;; [unrolled: 1-line block ×7, first 2 shown]
	s_barrier
	v_lshlrev_b32_e32 v177, 4, v46
	buffer_gl0_inv
	ds_write_b128 v119, v[52:55]
	v_lshlrev_b32_e32 v178, 4, v45
	v_lshlrev_b32_e32 v52, 1, v46
	;; [unrolled: 1-line block ×11, first 2 shown]
	v_add_nc_u32_e32 v198, 0x310, v51
	v_lshlrev_b32_e32 v54, 1, v172
	v_lshlrev_b32_e32 v184, 4, v172
	v_add_nc_u32_e32 v202, 0x3f0, v51
	v_lshlrev_b32_e32 v183, 4, v58
	v_fma_f32 v21, v21, 2.0, -v23
	v_fma_f32 v22, v22, 2.0, -v24
	;; [unrolled: 1-line block ×3, first 2 shown]
	v_lshlrev_b32_e32 v4, 3, v51
	v_fma_f32 v5, v5, 2.0, -v7
	v_fma_f32 v6, v6, 2.0, -v8
	ds_write_b128 v177, v[35:38]
	ds_write_b128 v178, v[25:28]
	;; [unrolled: 1-line block ×6, first 2 shown]
	ds_write_b128 v4, v[21:24] offset:6272
	ds_write_b128 v184, v[13:16]
	ds_write_b128 v4, v[5:8] offset:8064
	s_and_saveexec_b32 s2, vcc_lo
	s_cbranch_execz .LBB0_7
; %bb.6:
	ds_write_b128 v183, v[0:3]
.LBB0_7:
	s_or_b32 exec_lo, exec_lo, s2
	v_add_nc_u32_e32 v12, 0x1000, v171
	v_add_nc_u32_e32 v16, 0x1800, v171
	;; [unrolled: 1-line block ×5, first 2 shown]
	s_waitcnt lgkmcnt(0)
	s_barrier
	buffer_gl0_inv
	ds_read2_b64 v[4:7], v171 offset1:56
	ds_read2_b64 v[24:27], v12 offset0:76 offset1:132
	ds_read2_b64 v[8:11], v171 offset0:112 offset1:168
	;; [unrolled: 1-line block ×9, first 2 shown]
	s_and_saveexec_b32 s2, vcc_lo
	s_cbranch_execz .LBB0_9
; %bb.8:
	ds_read_b64 v[0:1], v171 offset:4480
	ds_read_b64 v[2:3], v171 offset:9184
.LBB0_9:
	s_or_b32 exec_lo, exec_lo, s2
	v_and_b32_e32 v175, 1, v173
	v_lshlrev_b32_e32 v174, 1, v58
	v_lshlrev_b32_e32 v59, 3, v175
	v_and_or_b32 v58, 0x7c, v51, v175
	v_and_or_b32 v60, 0x1fc, v44, v175
	;; [unrolled: 1-line block ×4, first 2 shown]
	global_load_dwordx2 v[167:168], v59, s[0:1]
	v_and_or_b32 v59, 0xfc, v52, v175
	v_and_or_b32 v66, 0x3fc, v54, v175
	;; [unrolled: 1-line block ×6, first 2 shown]
	v_lshlrev_b32_e32 v194, 3, v58
	v_lshlrev_b32_e32 v193, 3, v59
	;; [unrolled: 1-line block ×10, first 2 shown]
	s_waitcnt vmcnt(0) lgkmcnt(0)
	s_barrier
	buffer_gl0_inv
	v_mul_f32_e32 v58, v25, v168
	v_mul_f32_e32 v59, v24, v168
	;; [unrolled: 1-line block ×22, first 2 shown]
	v_fma_f32 v24, v24, v167, -v58
	v_fmac_f32_e32 v59, v25, v167
	v_fma_f32 v25, v26, v167, -v60
	v_fma_f32 v26, v28, v167, -v62
	;; [unrolled: 1-line block ×6, first 2 shown]
	v_fmac_f32_e32 v80, v3, v167
	v_fmac_f32_e32 v61, v27, v167
	;; [unrolled: 1-line block ×6, first 2 shown]
	v_fma_f32 v36, v36, v167, -v70
	v_fmac_f32_e32 v71, v37, v167
	v_fma_f32 v37, v38, v167, -v72
	v_fmac_f32_e32 v73, v39, v167
	;; [unrolled: 2-line block ×4, first 2 shown]
	v_sub_f32_e32 v2, v4, v24
	v_sub_f32_e32 v3, v5, v59
	v_sub_f32_e32 v42, v0, v42
	v_sub_f32_e32 v43, v1, v80
	v_sub_f32_e32 v24, v6, v25
	v_sub_f32_e32 v25, v7, v61
	v_sub_f32_e32 v26, v8, v26
	v_sub_f32_e32 v27, v9, v63
	v_sub_f32_e32 v28, v10, v28
	v_sub_f32_e32 v29, v11, v65
	v_sub_f32_e32 v30, v12, v30
	v_sub_f32_e32 v31, v13, v67
	v_sub_f32_e32 v32, v14, v40
	v_sub_f32_e32 v33, v15, v69
	v_sub_f32_e32 v34, v20, v36
	v_sub_f32_e32 v35, v21, v71
	v_sub_f32_e32 v36, v22, v37
	v_sub_f32_e32 v37, v23, v73
	v_sub_f32_e32 v38, v16, v38
	v_sub_f32_e32 v39, v17, v75
	v_sub_f32_e32 v58, v18, v41
	v_sub_f32_e32 v59, v19, v77
	v_fma_f32 v4, v4, 2.0, -v2
	v_fma_f32 v5, v5, 2.0, -v3
	;; [unrolled: 1-line block ×22, first 2 shown]
	ds_write2_b64 v194, v[4:5], v[2:3] offset1:2
	ds_write2_b64 v193, v[6:7], v[24:25] offset1:2
	;; [unrolled: 1-line block ×10, first 2 shown]
	s_and_saveexec_b32 s2, vcc_lo
	s_cbranch_execz .LBB0_11
; %bb.10:
	v_and_or_b32 v0, 0x4fc, v174, v175
	v_lshlrev_b32_e32 v0, 3, v0
	ds_write2_b64 v0, v[40:41], v[42:43] offset1:2
.LBB0_11:
	s_or_b32 exec_lo, exec_lo, s2
	v_add_nc_u32_e32 v8, 0x1000, v171
	v_add_nc_u32_e32 v12, 0x1800, v171
	;; [unrolled: 1-line block ×5, first 2 shown]
	s_waitcnt lgkmcnt(0)
	s_barrier
	buffer_gl0_inv
	ds_read2_b64 v[0:3], v171 offset1:56
	ds_read2_b64 v[20:23], v8 offset0:76 offset1:132
	ds_read2_b64 v[4:7], v171 offset0:112 offset1:168
	;; [unrolled: 1-line block ×9, first 2 shown]
	s_and_saveexec_b32 s2, vcc_lo
	s_cbranch_execz .LBB0_13
; %bb.12:
	ds_read_b64 v[40:41], v171 offset:4480
	ds_read_b64 v[42:43], v171 offset:9184
.LBB0_13:
	s_or_b32 exec_lo, exec_lo, s2
	v_and_b32_e32 v176, 3, v173
	v_lshlrev_b32_e32 v58, 3, v176
	v_and_or_b32 v51, 0x78, v51, v176
	v_and_or_b32 v44, 0x1f8, v44, v176
	;; [unrolled: 1-line block ×4, first 2 shown]
	global_load_dwordx2 v[165:166], v58, s[0:1] offset:16
	v_and_or_b32 v55, 0x2f8, v55, v176
	v_and_or_b32 v54, 0x3f8, v54, v176
	;; [unrolled: 1-line block ×6, first 2 shown]
	v_lshlrev_b32_e32 v206, 3, v51
	v_lshlrev_b32_e32 v204, 3, v44
	v_lshlrev_b32_e32 v205, 3, v52
	v_lshlrev_b32_e32 v199, 3, v53
	v_lshlrev_b32_e32 v200, 3, v55
	v_lshlrev_b32_e32 v196, 3, v54
	v_lshlrev_b32_e32 v203, 3, v56
	v_lshlrev_b32_e32 v201, 3, v57
	v_lshlrev_b32_e32 v197, 3, v58
	v_lshlrev_b32_e32 v195, 3, v59
	s_waitcnt vmcnt(0) lgkmcnt(0)
	s_barrier
	buffer_gl0_inv
	v_mul_f32_e32 v44, v21, v166
	v_mul_f32_e32 v51, v20, v166
	;; [unrolled: 1-line block ×22, first 2 shown]
	v_fma_f32 v20, v20, v165, -v44
	v_fmac_f32_e32 v51, v21, v165
	v_fma_f32 v22, v22, v165, -v52
	v_fmac_f32_e32 v53, v23, v165
	;; [unrolled: 2-line block ×11, first 2 shown]
	v_sub_f32_e32 v20, v0, v20
	v_sub_f32_e32 v21, v1, v51
	;; [unrolled: 1-line block ×22, first 2 shown]
	v_fma_f32 v0, v0, 2.0, -v20
	v_fma_f32 v1, v1, 2.0, -v21
	;; [unrolled: 1-line block ×20, first 2 shown]
	ds_write2_b64 v206, v[0:1], v[20:21] offset1:4
	ds_write2_b64 v205, v[2:3], v[22:23] offset1:4
	ds_write2_b64 v204, v[4:5], v[24:25] offset1:4
	ds_write2_b64 v203, v[6:7], v[26:27] offset1:4
	ds_write2_b64 v201, v[8:9], v[28:29] offset1:4
	ds_write2_b64 v200, v[10:11], v[30:31] offset1:4
	ds_write2_b64 v199, v[16:17], v[32:33] offset1:4
	ds_write2_b64 v197, v[18:19], v[34:35] offset1:4
	ds_write2_b64 v196, v[12:13], v[36:37] offset1:4
	ds_write2_b64 v195, v[14:15], v[38:39] offset1:4
	s_and_saveexec_b32 s2, vcc_lo
	s_cbranch_execz .LBB0_15
; %bb.14:
	v_and_or_b32 v2, 0x4f8, v174, v176
	v_fma_f32 v1, v41, 2.0, -v77
	v_fma_f32 v0, v40, 2.0, -v76
	v_lshlrev_b32_e32 v2, 3, v2
	ds_write2_b64 v2, v[0:1], v[76:77] offset1:4
.LBB0_15:
	s_or_b32 exec_lo, exec_lo, s2
	v_and_b32_e32 v4, 7, v173
	s_waitcnt lgkmcnt(0)
	s_barrier
	buffer_gl0_inv
	v_add_nc_u32_e32 v82, 0x800, v171
	v_lshlrev_b32_e32 v0, 4, v4
	v_add_nc_u32_e32 v87, 0x1800, v171
	v_add_nc_u32_e32 v83, 0x1000, v171
	;; [unrolled: 1-line block ×3, first 2 shown]
	v_lshrrev_b32_e32 v37, 3, v173
	global_load_dwordx4 v[0:3], v0, s[0:1] offset:48
	ds_read2_b64 v[5:8], v82 offset0:80 offset1:136
	ds_read2_b64 v[9:12], v87 offset0:16 offset1:72
	;; [unrolled: 1-line block ×3, first 2 shown]
	ds_read2_b64 v[17:20], v171 offset1:56
	ds_read2_b64 v[21:24], v87 offset0:128 offset1:184
	ds_read2_b64 v[25:28], v83 offset0:48 offset1:104
	ds_read2_b64 v[29:32], v85 offset0:112 offset1:168
	ds_read2_b64 v[33:36], v83 offset0:160 offset1:216
	v_mul_u32_u24_e32 v37, 24, v37
	v_add_nc_u32_e32 v84, 0x400, v171
	v_mov_b32_e32 v170, 0xa8
	s_add_u32 s2, s12, 0x24c0
	s_addc_u32 s3, s13, 0
	s_waitcnt vmcnt(0) lgkmcnt(6)
	v_mul_f32_e32 v40, v10, v3
	v_mul_f32_e32 v41, v9, v3
	v_mul_f32_e32 v43, v12, v3
	v_mul_f32_e32 v44, v11, v3
	v_mul_f32_e32 v38, v8, v1
	v_fma_f32 v9, v9, v2, -v40
	v_fmac_f32_e32 v41, v10, v2
	v_fma_f32 v40, v11, v2, -v43
	s_waitcnt lgkmcnt(5)
	v_mul_f32_e32 v10, v16, v1
	s_waitcnt lgkmcnt(3)
	v_mul_f32_e32 v11, v22, v3
	v_mul_f32_e32 v39, v7, v1
	s_waitcnt lgkmcnt(2)
	v_mul_f32_e32 v55, v25, v1
	v_fmac_f32_e32 v44, v12, v2
	v_fma_f32 v53, v15, v0, -v10
	v_mul_f32_e32 v10, v26, v1
	v_fma_f32 v56, v21, v2, -v11
	v_mul_f32_e32 v11, v28, v1
	v_mul_f32_e32 v12, v24, v3
	;; [unrolled: 1-line block ×3, first 2 shown]
	s_waitcnt lgkmcnt(1)
	v_mul_f32_e32 v59, v29, v3
	v_fma_f32 v25, v25, v0, -v10
	v_fmac_f32_e32 v55, v26, v0
	v_fma_f32 v26, v27, v0, -v11
	s_waitcnt lgkmcnt(0)
	v_mul_f32_e32 v10, v34, v1
	v_mul_f32_e32 v11, v32, v3
	;; [unrolled: 1-line block ×3, first 2 shown]
	v_fma_f32 v7, v7, v0, -v38
	v_fmac_f32_e32 v39, v8, v0
	v_mul_f32_e32 v52, v21, v3
	v_fma_f32 v57, v23, v2, -v12
	v_mul_f32_e32 v12, v30, v3
	v_fmac_f32_e32 v58, v28, v0
	v_mul_f32_e32 v28, v33, v1
	v_fmac_f32_e32 v59, v30, v2
	v_fma_f32 v30, v31, v2, -v11
	v_fmac_f32_e32 v27, v32, v2
	v_mul_f32_e32 v11, v36, v1
	v_fma_f32 v32, v33, v0, -v10
	v_add_f32_e32 v8, v7, v9
	v_add_f32_e32 v10, v39, v41
	v_mul_f32_e32 v51, v13, v1
	v_mul_f32_e32 v54, v23, v3
	v_fmac_f32_e32 v52, v22, v2
	v_mul_f32_e32 v31, v35, v1
	v_fmac_f32_e32 v28, v34, v0
	v_fma_f32 v33, v35, v0, -v11
	v_or_b32_e32 v11, v37, v4
	v_fma_f32 v21, -0.5, v8, v17
	v_fma_f32 v22, -0.5, v10, v18
	v_sub_f32_e32 v34, v39, v41
	v_sub_f32_e32 v35, v7, v9
	v_mul_f32_e32 v42, v14, v1
	v_mul_f32_e32 v43, v15, v1
	v_fmac_f32_e32 v51, v14, v0
	v_fmac_f32_e32 v54, v24, v2
	v_fma_f32 v29, v29, v2, -v12
	v_add_f32_e32 v12, v17, v7
	v_add_f32_e32 v8, v18, v39
	v_lshlrev_b32_e32 v207, 3, v11
	v_fmamk_f32 v23, v34, 0x3f5db3d7, v21
	v_fmamk_f32 v24, v35, 0xbf5db3d7, v22
	v_fmac_f32_e32 v21, 0xbf5db3d7, v34
	v_fmac_f32_e32 v22, 0x3f5db3d7, v35
	v_fma_f32 v42, v13, v0, -v42
	v_fmac_f32_e32 v43, v16, v0
	ds_read_b64 v[15:16], v171 offset:8960
	v_add_f32_e32 v17, v12, v9
	v_add_f32_e32 v18, v8, v41
	ds_read2_b64 v[7:10], v171 offset0:112 offset1:168
	ds_read2_b64 v[11:14], v84 offset0:96 offset1:152
	s_waitcnt lgkmcnt(0)
	s_barrier
	buffer_gl0_inv
	ds_write_b64 v207, v[21:22] offset:128
	v_add_f32_e32 v21, v51, v44
	ds_write2_b64 v207, v[17:18], v[23:24] offset1:8
	v_add_f32_e32 v17, v20, v51
	v_add_f32_e32 v22, v42, v40
	v_sub_f32_e32 v23, v51, v44
	v_fmac_f32_e32 v20, -0.5, v21
	v_lshrrev_b32_e32 v21, 3, v46
	v_add_f32_e32 v18, v17, v44
	v_add_f32_e32 v17, v19, v42
	v_sub_f32_e32 v24, v42, v40
	v_fma_f32 v19, -0.5, v22, v19
	v_mul_u32_u24_e32 v21, 24, v21
	v_lshrrev_b32_e32 v34, 3, v50
	v_add_f32_e32 v17, v17, v40
	v_fmamk_f32 v22, v24, 0xbf5db3d7, v20
	v_fmac_f32_e32 v20, 0x3f5db3d7, v24
	v_or_b32_e32 v21, v21, v4
	v_mul_u32_u24_e32 v34, 24, v34
	v_fmac_f32_e32 v31, v36, v0
	v_sub_f32_e32 v24, v43, v52
	v_add_f32_e32 v42, v58, v59
	v_lshlrev_b32_e32 v208, 3, v21
	v_fmamk_f32 v21, v23, 0x3f5db3d7, v19
	v_fmac_f32_e32 v19, 0xbf5db3d7, v23
	v_add_f32_e32 v41, v55, v54
	v_add_f32_e32 v39, v25, v57
	v_sub_f32_e32 v44, v55, v54
	ds_write2_b64 v208, v[17:18], v[21:22] offset1:8
	v_lshrrev_b32_e32 v18, 3, v47
	v_lshrrev_b32_e32 v17, 3, v45
	;; [unrolled: 1-line block ×4, first 2 shown]
	ds_write_b64 v208, v[19:20] offset:128
	v_mul_u32_u24_e32 v18, 24, v18
	v_mul_u32_u24_e32 v17, 24, v17
	v_mul_u32_u24_e32 v21, 24, v21
	v_mul_u32_u24_e32 v22, 24, v22
	v_add_f32_e32 v19, v43, v52
	v_or_b32_e32 v35, v18, v4
	v_and_b32_e32 v18, 0xff, v46
	v_or_b32_e32 v17, v17, v4
	v_or_b32_e32 v36, v21, v4
	;; [unrolled: 1-line block ×4, first 2 shown]
	v_mul_lo_u16 v18, 0xab, v18
	v_lshlrev_b32_e32 v209, 3, v17
	v_add_f32_e32 v17, v7, v53
	v_add_f32_e32 v20, v8, v43
	v_sub_f32_e32 v34, v53, v56
	v_lshrrev_b16 v40, 12, v18
	v_fma_f32 v8, -0.5, v19, v8
	v_add_f32_e32 v17, v17, v56
	v_add_f32_e32 v43, v26, v29
	v_sub_f32_e32 v47, v26, v29
	v_mul_lo_u16 v18, v40, 24
	v_sub_f32_e32 v48, v28, v27
	v_mul_f32_e32 v21, v16, v3
	v_mul_f32_e32 v22, v15, v3
	v_lshlrev_b32_e32 v213, 3, v35
	v_sub_nc_u16 v23, v46, v18
	v_add_f32_e32 v18, v53, v56
	v_fma_f32 v38, v15, v2, -v21
	v_fmac_f32_e32 v22, v16, v2
	v_add_f32_e32 v21, v6, v31
	v_add_f32_e32 v16, v10, v55
	v_fma_f32 v7, -0.5, v18, v7
	v_add_f32_e32 v18, v20, v52
	v_fmamk_f32 v20, v34, 0xbf5db3d7, v8
	v_fmac_f32_e32 v10, -0.5, v41
	v_and_b32_e32 v41, 0xff, v23
	v_fmamk_f32 v19, v24, 0x3f5db3d7, v7
	v_sub_f32_e32 v49, v31, v22
	v_add_f32_e32 v15, v9, v25
	v_sub_f32_e32 v25, v25, v57
	v_fma_f32 v9, -0.5, v39, v9
	ds_write2_b64 v209, v[17:18], v[19:20] offset1:8
	v_add_f32_e32 v19, v14, v28
	v_add_f32_e32 v17, v11, v26
	v_add_f32_e32 v26, v28, v27
	v_add_f32_e32 v18, v12, v58
	v_fma_f32 v12, -0.5, v42, v12
	v_add_f32_e32 v20, v19, v27
	v_add_f32_e32 v27, v32, v30
	;; [unrolled: 1-line block ×3, first 2 shown]
	v_fmac_f32_e32 v14, -0.5, v26
	v_add_f32_e32 v17, v17, v29
	v_add_f32_e32 v28, v31, v22
	v_fma_f32 v13, -0.5, v27, v13
	v_and_b32_e32 v27, 0xff, v173
	v_add_f32_e32 v29, v33, v38
	v_fma_f32 v11, -0.5, v43, v11
	v_add_f32_e32 v22, v21, v22
	v_add_f32_e32 v21, v5, v33
	v_mul_lo_u16 v27, 0xab, v27
	v_fma_f32 v5, -0.5, v29, v5
	v_fmac_f32_e32 v6, -0.5, v28
	v_sub_f32_e32 v46, v58, v59
	v_fmac_f32_e32 v8, 0x3f5db3d7, v34
	v_lshrrev_b16 v42, 12, v27
	v_mad_u64_u32 v[34:35], null, v41, 48, s[0:1]
	v_sub_f32_e32 v32, v32, v30
	v_add_f32_e32 v21, v21, v38
	v_mul_lo_u16 v26, v42, 24
	v_sub_f32_e32 v38, v33, v38
	v_fmac_f32_e32 v7, 0xbf5db3d7, v24
	v_add_f32_e32 v15, v15, v57
	v_add_f32_e32 v16, v16, v54
	v_sub_nc_u16 v26, v173, v26
	v_fmamk_f32 v23, v44, 0x3f5db3d7, v9
	v_fmamk_f32 v24, v25, 0xbf5db3d7, v10
	v_fmac_f32_e32 v9, 0xbf5db3d7, v44
	v_fmac_f32_e32 v10, 0x3f5db3d7, v25
	v_and_b32_e32 v43, 0xff, v26
	v_add_f32_e32 v18, v18, v59
	v_lshlrev_b32_e32 v212, 3, v36
	v_fmamk_f32 v25, v46, 0x3f5db3d7, v11
	v_fmamk_f32 v26, v47, 0xbf5db3d7, v12
	v_mad_u64_u32 v[28:29], null, v43, 48, s[0:1]
	v_add_f32_e32 v19, v19, v30
	v_fmac_f32_e32 v11, 0xbf5db3d7, v46
	v_fmac_f32_e32 v12, 0x3f5db3d7, v47
	v_fmamk_f32 v30, v48, 0x3f5db3d7, v13
	v_fmac_f32_e32 v13, 0xbf5db3d7, v48
	v_fmamk_f32 v31, v32, 0xbf5db3d7, v14
	;; [unrolled: 2-line block ×4, first 2 shown]
	v_fmac_f32_e32 v6, 0x3f5db3d7, v38
	v_lshlrev_b32_e32 v211, 3, v37
	v_lshlrev_b32_e32 v210, 3, v4
	ds_write_b64 v209, v[7:8] offset:128
	ds_write2_b64 v213, v[15:16], v[23:24] offset1:8
	ds_write_b64 v213, v[9:10] offset:128
	ds_write2_b64 v212, v[17:18], v[25:26] offset1:8
	;; [unrolled: 2-line block ×4, first 2 shown]
	ds_write_b64 v210, v[5:6] offset:128
	s_waitcnt lgkmcnt(0)
	s_barrier
	buffer_gl0_inv
	s_clause 0x5
	global_load_dwordx4 v[24:27], v[28:29], off offset:176
	global_load_dwordx4 v[12:15], v[34:35], off offset:176
	;; [unrolled: 1-line block ×6, first 2 shown]
	ds_read2_b64 v[28:31], v82 offset0:80 offset1:136
	ds_read2_b64 v[32:35], v83 offset0:160 offset1:216
	v_mul_u32_u24_sdwa v42, v42, v170 dst_sel:DWORD dst_unused:UNUSED_PAD src0_sel:WORD_0 src1_sel:DWORD
	v_mul_u32_u24_sdwa v40, v40, v170 dst_sel:DWORD dst_unused:UNUSED_PAD src0_sel:WORD_0 src1_sel:DWORD
	v_add_lshl_u32 v214, v42, v43, 3
	s_waitcnt vmcnt(5) lgkmcnt(1)
	v_mul_f32_e32 v36, v29, v27
	v_mul_f32_e32 v52, v28, v27
	s_waitcnt vmcnt(4)
	v_mul_f32_e32 v37, v31, v15
	v_mul_f32_e32 v53, v30, v15
	s_waitcnt vmcnt(3) lgkmcnt(0)
	v_mul_f32_e32 v56, v32, v23
	v_fma_f32 v54, v28, v26, -v36
	v_fmac_f32_e32 v52, v29, v26
	v_mul_f32_e32 v28, v33, v23
	s_waitcnt vmcnt(2)
	v_mul_f32_e32 v29, v35, v11
	v_fma_f32 v55, v30, v14, -v37
	v_fmac_f32_e32 v53, v31, v14
	v_mul_f32_e32 v57, v34, v11
	v_fma_f32 v58, v32, v22, -v28
	v_fma_f32 v59, v34, v10, -v29
	ds_read2_b64 v[28:31], v85 offset0:112 offset1:168
	v_fmac_f32_e32 v56, v33, v22
	v_fmac_f32_e32 v57, v35, v10
	ds_read2_b64 v[34:37], v84 offset0:96 offset1:152
	s_waitcnt vmcnt(1) lgkmcnt(1)
	v_mul_f32_e32 v32, v29, v19
	v_mul_f32_e32 v61, v28, v19
	s_waitcnt vmcnt(0)
	v_mul_f32_e32 v63, v30, v7
	s_waitcnt lgkmcnt(0)
	v_mul_f32_e32 v67, v34, v13
	v_fma_f32 v60, v28, v18, -v32
	v_mul_f32_e32 v28, v31, v7
	v_fmac_f32_e32 v61, v29, v18
	v_fmac_f32_e32 v63, v31, v6
	;; [unrolled: 1-line block ×3, first 2 shown]
	v_fma_f32 v62, v30, v6, -v28
	v_and_b32_e32 v28, 0xff, v45
	v_add_f32_e32 v108, v67, v63
	v_mul_lo_u16 v28, 0xab, v28
	v_lshrrev_b16 v64, 12, v28
	v_mul_lo_u16 v28, v64, 24
	v_sub_nc_u16 v28, v45, v28
	v_and_b32_e32 v65, 0xff, v28
	v_mul_f32_e32 v28, v35, v13
	v_mad_u64_u32 v[48:49], null, v65, 48, s[0:1]
	v_fma_f32 v66, v34, v12, -v28
	s_clause 0x1
	global_load_dwordx4 v[32:35], v[48:49], off offset:176
	global_load_dwordx4 v[28:31], v[48:49], off offset:192
	v_add_f32_e32 v104, v66, v62
	ds_read_b64 v[50:51], v171 offset:8960
	s_waitcnt vmcnt(1)
	v_mul_f32_e32 v38, v37, v33
	v_mul_f32_e32 v69, v36, v33
	v_fma_f32 v68, v36, v32, -v38
	v_fmac_f32_e32 v69, v37, v32
	ds_read2_b64 v[36:39], v82 offset0:192 offset1:248
	s_waitcnt lgkmcnt(0)
	v_mul_f32_e32 v44, v39, v21
	v_mul_f32_e32 v71, v38, v21
	;; [unrolled: 1-line block ×3, first 2 shown]
	v_fma_f32 v70, v38, v20, -v44
	v_mul_f32_e32 v38, v37, v35
	v_fmac_f32_e32 v71, v39, v20
	v_fmac_f32_e32 v73, v37, v34
	v_add_f32_e32 v98, v70, v58
	v_fma_f32 v72, v36, v34, -v38
	ds_read2_b64 v[36:39], v83 offset0:48 offset1:104
	v_add_f32_e32 v102, v71, v56
	v_sub_f32_e32 v42, v58, v70
	v_sub_f32_e32 v43, v56, v71
	s_waitcnt lgkmcnt(0)
	v_mul_f32_e32 v44, v37, v9
	v_mul_f32_e32 v75, v36, v9
	s_waitcnt vmcnt(0)
	v_mul_f32_e32 v80, v38, v29
	v_fma_f32 v74, v36, v8, -v44
	v_mul_f32_e32 v36, v39, v29
	v_fmac_f32_e32 v75, v37, v8
	v_fmac_f32_e32 v80, v39, v28
	v_add_f32_e32 v106, v74, v59
	v_fma_f32 v79, v38, v28, -v36
	ds_read2_b64 v[36:39], v87 offset0:16 offset1:72
	v_add_f32_e32 v110, v75, v57
	s_waitcnt lgkmcnt(0)
	v_mul_f32_e32 v44, v39, v17
	v_mul_f32_e32 v86, v38, v17
	;; [unrolled: 1-line block ×3, first 2 shown]
	v_fma_f32 v81, v38, v16, -v44
	ds_read2_b64 v[44:47], v87 offset0:128 offset1:184
	v_mul_f32_e32 v38, v37, v31
	v_fmac_f32_e32 v86, v39, v16
	v_fmac_f32_e32 v89, v37, v30
	v_add_f32_e32 v97, v54, v81
	v_sub_f32_e32 v54, v54, v81
	v_fma_f32 v88, v36, v30, -v38
	v_add_f32_e32 v101, v52, v86
	v_sub_f32_e32 v52, v52, v86
	v_sub_f32_e32 v58, v98, v97
	v_add_f32_e32 v81, v42, v54
	v_sub_f32_e32 v86, v42, v54
	v_sub_f32_e32 v71, v102, v101
	v_add_f32_e32 v114, v79, v88
	v_add_f32_e32 v118, v80, v89
	v_mul_f32_e32 v86, 0xbf08b237, v86
	s_waitcnt lgkmcnt(0)
	v_mul_f32_e32 v36, v45, v5
	v_mul_f32_e32 v91, v44, v5
	v_fma_f32 v90, v44, v4, -v36
	global_load_dwordx4 v[36:39], v[48:49], off offset:208
	v_fmac_f32_e32 v91, v45, v4
	v_add_f32_e32 v105, v55, v90
	v_add_f32_e32 v109, v53, v91
	s_waitcnt vmcnt(0)
	v_mul_f32_e32 v44, v47, v37
	v_mul_f32_e32 v93, v46, v37
	;; [unrolled: 1-line block ×3, first 2 shown]
	v_fma_f32 v92, v46, v36, -v44
	v_fmac_f32_e32 v93, v47, v36
	ds_read2_b64 v[44:47], v171 offset0:112 offset1:168
	v_fma_f32 v112, v50, v38, -v112
	v_mul_f32_e32 v50, v50, v39
	v_add_f32_e32 v113, v72, v92
	v_add_f32_e32 v117, v73, v93
	v_fmac_f32_e32 v50, v51, v38
	v_add_f32_e32 v51, v68, v112
	v_add_f32_e32 v116, v69, v50
	;; [unrolled: 1-line block ×5, first 2 shown]
	s_waitcnt lgkmcnt(0)
	v_mul_f32_e32 v48, v47, v25
	v_mul_f32_e32 v95, v46, v25
	v_add_f32_e32 v169, v118, v169
	v_add_f32_e32 v44, v44, v115
	v_fma_f32 v94, v46, v24, -v48
	v_fmac_f32_e32 v95, v47, v24
	v_add_f32_e32 v45, v45, v169
	v_add_f32_e32 v96, v94, v60
	v_add_f32_e32 v100, v95, v61
	v_sub_f32_e32 v60, v94, v60
	v_sub_f32_e32 v61, v95, v61
	;; [unrolled: 1-line block ×3, first 2 shown]
	v_add_f32_e32 v46, v97, v96
	v_sub_f32_e32 v56, v96, v98
	v_sub_f32_e32 v70, v100, v102
	;; [unrolled: 1-line block ×3, first 2 shown]
	v_add_f32_e32 v42, v43, v52
	v_add_f32_e32 v99, v98, v46
	;; [unrolled: 1-line block ×3, first 2 shown]
	v_mul_f32_e32 v56, 0x3f4a47b2, v56
	v_sub_f32_e32 v98, v61, v43
	v_mul_f32_e32 v70, 0x3f4a47b2, v70
	v_mul_f32_e32 v95, 0xbf08b237, v95
	v_add_f32_e32 v103, v102, v46
	v_add_f32_e32 v46, v105, v104
	;; [unrolled: 1-line block ×3, first 2 shown]
	v_fmamk_f32 v42, v58, 0x3d64c772, v56
	v_add_f32_e32 v81, v81, v60
	v_fmamk_f32 v215, v94, 0x3eae86e6, v86
	v_add_f32_e32 v107, v106, v46
	v_add_f32_e32 v46, v109, v108
	v_fmamk_f32 v216, v98, 0x3eae86e6, v95
	v_fmac_f32_e32 v215, 0x3ee1c552, v81
	v_add_f32_e32 v111, v110, v46
	ds_read2_b64 v[46:49], v171 offset1:56
	v_fmac_f32_e32 v216, 0x3ee1c552, v102
	s_waitcnt lgkmcnt(0)
	s_barrier
	buffer_gl0_inv
	v_add_f32_e32 v46, v46, v99
	v_add_f32_e32 v47, v47, v103
	;; [unrolled: 1-line block ×4, first 2 shown]
	v_fmamk_f32 v99, v99, 0xbf955555, v46
	v_fmamk_f32 v103, v103, 0xbf955555, v47
	v_add_f32_e32 v217, v42, v99
	v_fmamk_f32 v42, v71, 0x3d64c772, v70
	v_add_f32_e32 v218, v42, v103
	v_add_f32_e32 v42, v216, v217
	v_sub_f32_e32 v43, v218, v215
	ds_write2_b64 v214, v[46:47], v[42:43] offset1:24
	v_sub_f32_e32 v46, v54, v60
	v_sub_f32_e32 v42, v97, v96
	;; [unrolled: 1-line block ×3, first 2 shown]
	v_mul_f32_e32 v52, 0x3d64c772, v58
	v_sub_f32_e32 v43, v101, v100
	v_fma_f32 v54, 0x3f5ff5aa, v46, -v86
	v_mul_f32_e32 v46, 0x3f5ff5aa, v46
	v_fma_f32 v58, 0x3f5ff5aa, v47, -v95
	v_fma_f32 v52, 0x3f3bfb3b, v42, -v52
	;; [unrolled: 1-line block ×3, first 2 shown]
	v_fmac_f32_e32 v54, 0x3ee1c552, v81
	v_fma_f32 v56, 0xbeae86e6, v94, -v46
	v_mul_f32_e32 v46, 0x3f5ff5aa, v47
	v_fmac_f32_e32 v58, 0x3ee1c552, v102
	v_add_f32_e32 v52, v52, v99
	v_add_f32_e32 v61, v42, v99
	v_fmac_f32_e32 v56, 0x3ee1c552, v81
	v_fma_f32 v60, 0xbeae86e6, v98, -v46
	v_mul_f32_e32 v46, 0x3d64c772, v71
	v_fmac_f32_e32 v60, 0x3ee1c552, v102
	v_fma_f32 v46, 0x3f3bfb3b, v43, -v46
	v_fma_f32 v43, 0xbf3bfb3b, v43, -v70
	v_add_f32_e32 v42, v60, v61
	v_add_f32_e32 v71, v46, v103
	v_add_f32_e32 v70, v43, v103
	v_sub_f32_e32 v46, v52, v58
	v_add_f32_e32 v47, v54, v71
	v_sub_f32_e32 v43, v70, v56
	ds_write2_b64 v214, v[42:43], v[46:47] offset0:48 offset1:72
	v_add_f32_e32 v42, v58, v52
	v_sub_f32_e32 v43, v71, v54
	v_sub_f32_e32 v46, v61, v60
	v_add_f32_e32 v47, v56, v70
	v_sub_f32_e32 v52, v104, v106
	v_sub_f32_e32 v54, v108, v110
	ds_write2_b64 v214, v[42:43], v[46:47] offset0:96 offset1:120
	v_sub_f32_e32 v42, v217, v216
	v_add_f32_e32 v43, v215, v218
	v_add_lshl_u32 v215, v40, v41, 3
	v_sub_f32_e32 v46, v55, v90
	v_sub_f32_e32 v47, v53, v91
	;; [unrolled: 1-line block ×3, first 2 shown]
	ds_write_b64 v214, v[42:43] offset:1152
	v_sub_f32_e32 v42, v66, v62
	v_sub_f32_e32 v41, v57, v75
	;; [unrolled: 1-line block ×4, first 2 shown]
	v_add_f32_e32 v56, v40, v46
	v_sub_f32_e32 v57, v40, v46
	v_sub_f32_e32 v58, v42, v40
	v_add_f32_e32 v40, v41, v47
	v_sub_f32_e32 v59, v41, v47
	v_mul_f32_e32 v52, 0x3f4a47b2, v52
	v_sub_f32_e32 v55, v110, v109
	v_sub_f32_e32 v60, v43, v41
	v_add_f32_e32 v61, v40, v43
	v_mul_f32_e32 v57, 0xbf08b237, v57
	v_mul_f32_e32 v54, 0x3f4a47b2, v54
	;; [unrolled: 1-line block ×3, first 2 shown]
	v_fmamk_f32 v62, v107, 0xbf955555, v48
	v_fmamk_f32 v40, v53, 0x3d64c772, v52
	v_add_f32_e32 v56, v56, v42
	v_fmamk_f32 v63, v111, 0xbf955555, v49
	v_fmamk_f32 v66, v58, 0x3eae86e6, v57
	;; [unrolled: 1-line block ×3, first 2 shown]
	v_add_f32_e32 v70, v40, v62
	v_fmamk_f32 v40, v55, 0x3d64c772, v54
	v_sub_f32_e32 v42, v46, v42
	v_fmac_f32_e32 v66, 0x3ee1c552, v56
	v_fmac_f32_e32 v67, 0x3ee1c552, v61
	v_sub_f32_e32 v43, v47, v43
	v_add_f32_e32 v71, v40, v63
	v_fma_f32 v47, 0x3f5ff5aa, v42, -v57
	v_mul_f32_e32 v42, 0x3f5ff5aa, v42
	v_add_f32_e32 v40, v67, v70
	v_mul_f32_e32 v46, 0x3d64c772, v53
	v_sub_f32_e32 v41, v71, v66
	v_fmac_f32_e32 v47, 0x3ee1c552, v56
	ds_write2_b64 v215, v[48:49], v[40:41] offset1:24
	v_sub_f32_e32 v40, v105, v104
	v_fma_f32 v48, 0xbeae86e6, v58, -v42
	v_mul_f32_e32 v42, 0x3f5ff5aa, v43
	v_sub_f32_e32 v41, v109, v108
	v_fma_f32 v49, 0x3f5ff5aa, v43, -v59
	v_fma_f32 v46, 0x3f3bfb3b, v40, -v46
	;; [unrolled: 1-line block ×4, first 2 shown]
	v_mul_f32_e32 v42, 0x3d64c772, v55
	v_fmac_f32_e32 v48, 0x3ee1c552, v56
	v_fmac_f32_e32 v49, 0x3ee1c552, v61
	v_add_f32_e32 v46, v46, v62
	v_fmac_f32_e32 v52, 0x3ee1c552, v61
	v_fma_f32 v42, 0x3f3bfb3b, v41, -v42
	v_fma_f32 v41, 0xbf3bfb3b, v41, -v54
	v_add_f32_e32 v53, v40, v62
	v_fmamk_f32 v59, v115, 0xbf955555, v44
	v_fmamk_f32 v60, v169, 0xbf955555, v45
	v_add_f32_e32 v55, v42, v63
	v_add_f32_e32 v54, v41, v63
	v_add_f32_e32 v40, v52, v53
	v_sub_f32_e32 v42, v46, v49
	v_add_f32_e32 v43, v47, v55
	v_sub_f32_e32 v41, v54, v48
	ds_write2_b64 v215, v[40:41], v[42:43] offset0:48 offset1:72
	v_add_f32_e32 v40, v49, v46
	v_sub_f32_e32 v41, v55, v47
	v_sub_f32_e32 v42, v53, v52
	v_add_f32_e32 v43, v48, v54
	v_sub_f32_e32 v46, v72, v92
	v_sub_f32_e32 v47, v73, v93
	;; [unrolled: 1-line block ×4, first 2 shown]
	ds_write2_b64 v215, v[40:41], v[42:43] offset0:96 offset1:120
	v_sub_f32_e32 v40, v70, v67
	v_add_f32_e32 v41, v66, v71
	v_sub_f32_e32 v42, v68, v112
	v_sub_f32_e32 v43, v69, v50
	v_sub_f32_e32 v50, v116, v118
	v_mul_f32_e32 v48, 0x3f4a47b2, v48
	ds_write_b64 v215, v[40:41] offset:1152
	v_mul_u32_u24_sdwa v40, v64, v170 dst_sel:DWORD dst_unused:UNUSED_PAD src0_sel:WORD_0 src1_sel:DWORD
	v_sub_f32_e32 v41, v89, v80
	v_sub_f32_e32 v52, v118, v117
	v_mul_f32_e32 v50, 0x3f4a47b2, v50
	v_mad_u64_u32 v[68:69], null, v173, 48, s[0:1]
	v_add_lshl_u32 v216, v40, v65, 3
	v_sub_f32_e32 v40, v88, v79
	v_sub_f32_e32 v56, v41, v47
	;; [unrolled: 1-line block ×3, first 2 shown]
	v_add_f32_e32 v53, v40, v46
	v_sub_f32_e32 v54, v40, v46
	v_sub_f32_e32 v55, v42, v40
	v_add_f32_e32 v40, v41, v47
	v_mul_f32_e32 v56, 0xbf08b237, v56
	v_add_f32_e32 v53, v53, v42
	v_mul_f32_e32 v54, 0xbf08b237, v54
	v_sub_f32_e32 v42, v46, v42
	v_add_f32_e32 v58, v40, v43
	v_fmamk_f32 v40, v49, 0x3d64c772, v48
	v_fmamk_f32 v62, v57, 0x3eae86e6, v56
	;; [unrolled: 1-line block ×3, first 2 shown]
	v_sub_f32_e32 v43, v47, v43
	v_add_f32_e32 v63, v40, v59
	v_fmamk_f32 v40, v52, 0x3d64c772, v50
	v_fmac_f32_e32 v61, 0x3ee1c552, v53
	v_fmac_f32_e32 v62, 0x3ee1c552, v58
	v_fma_f32 v47, 0x3f5ff5aa, v43, -v56
	v_add_f32_e32 v64, v40, v60
	v_add_f32_e32 v40, v62, v63
	v_fmac_f32_e32 v47, 0x3ee1c552, v58
	v_sub_f32_e32 v41, v64, v61
	ds_write2_b64 v216, v[44:45], v[40:41] offset1:24
	v_fma_f32 v45, 0x3f5ff5aa, v42, -v54
	v_mul_f32_e32 v42, 0x3f5ff5aa, v42
	v_sub_f32_e32 v40, v113, v51
	v_mul_f32_e32 v44, 0x3d64c772, v49
	v_sub_f32_e32 v41, v117, v116
	v_fmac_f32_e32 v45, 0x3ee1c552, v53
	v_fma_f32 v46, 0xbeae86e6, v55, -v42
	v_mul_f32_e32 v42, 0x3f5ff5aa, v43
	v_fma_f32 v44, 0x3f3bfb3b, v40, -v44
	v_fma_f32 v40, 0xbf3bfb3b, v40, -v48
	v_fmac_f32_e32 v46, 0x3ee1c552, v53
	v_fma_f32 v48, 0xbeae86e6, v57, -v42
	v_mul_f32_e32 v42, 0x3d64c772, v52
	v_add_f32_e32 v44, v44, v59
	v_add_f32_e32 v49, v40, v59
	v_fmac_f32_e32 v48, 0x3ee1c552, v58
	v_fma_f32 v42, 0x3f3bfb3b, v41, -v42
	v_fma_f32 v41, 0xbf3bfb3b, v41, -v50
	v_add_f32_e32 v40, v48, v49
	v_add_f32_e32 v51, v42, v60
	;; [unrolled: 1-line block ×3, first 2 shown]
	v_sub_f32_e32 v42, v44, v47
	v_add_f32_e32 v43, v45, v51
	v_sub_f32_e32 v41, v50, v46
	ds_write2_b64 v216, v[40:41], v[42:43] offset0:48 offset1:72
	v_add_f32_e32 v40, v47, v44
	v_sub_f32_e32 v41, v51, v45
	v_sub_f32_e32 v42, v49, v48
	v_add_f32_e32 v43, v46, v50
	v_add_co_u32 v48, s0, 0x800, v68
	v_add_co_ci_u32_e64 v49, s0, 0, v69, s0
	ds_write2_b64 v216, v[40:41], v[42:43] offset0:96 offset1:120
	v_sub_f32_e32 v40, v63, v62
	v_add_f32_e32 v41, v61, v64
	v_add_co_u32 v62, s0, 0xfb0, v68
	v_add_co_ci_u32_e64 v63, s0, 0, v69, s0
	ds_write_b64 v216, v[40:41] offset:1152
	s_waitcnt lgkmcnt(0)
	s_barrier
	buffer_gl0_inv
	s_clause 0x1
	global_load_dwordx4 v[40:43], v[68:69], off offset:1328
	global_load_dwordx4 v[44:47], v[68:69], off offset:1344
	ds_read2_b64 v[54:57], v82 offset0:80 offset1:136
	s_waitcnt vmcnt(1) lgkmcnt(0)
	v_mul_f32_e32 v50, v55, v43
	v_mul_f32_e32 v99, v54, v43
	v_fma_f32 v98, v54, v42, -v50
	v_fmac_f32_e32 v99, v55, v42
	s_clause 0x1
	global_load_dwordx4 v[52:55], v[48:49], off offset:1968
	global_load_dwordx4 v[48:51], v[62:63], off offset:32
	ds_read2_b64 v[90:93], v83 offset0:48 offset1:104
	global_load_dwordx4 v[64:67], v[68:69], off offset:1360
	s_waitcnt vmcnt(2)
	v_mul_f32_e32 v58, v57, v55
	v_mul_f32_e32 v89, v56, v55
	v_fma_f32 v88, v56, v54, -v58
	ds_read2_b64 v[58:61], v83 offset0:160 offset1:216
	v_fmac_f32_e32 v89, v57, v54
	s_waitcnt lgkmcnt(0)
	v_mul_f32_e32 v56, v59, v47
	v_mul_f32_e32 v101, v58, v47
	v_fma_f32 v100, v58, v46, -v56
	v_fmac_f32_e32 v101, v59, v46
	global_load_dwordx4 v[56:59], v[62:63], off offset:16
	s_waitcnt vmcnt(0)
	v_mul_f32_e32 v62, v61, v59
	v_mul_f32_e32 v109, v60, v59
	;; [unrolled: 1-line block ×3, first 2 shown]
	v_fma_f32 v108, v60, v58, -v62
	v_fmac_f32_e32 v109, v61, v58
	ds_read2_b64 v[60:63], v85 offset0:112 offset1:168
	v_fmac_f32_e32 v115, v91, v56
	v_add_f32_e32 v236, v115, v109
	s_waitcnt lgkmcnt(0)
	v_mul_f32_e32 v70, v61, v67
	v_mul_f32_e32 v103, v60, v67
	;; [unrolled: 1-line block ×3, first 2 shown]
	v_fma_f32 v102, v60, v66, -v70
	ds_read2_b64 v[70:73], v84 offset0:96 offset1:152
	v_mul_f32_e32 v60, v63, v51
	v_fmac_f32_e32 v103, v61, v66
	v_fmac_f32_e32 v111, v63, v50
	v_fma_f32 v110, v62, v50, -v60
	v_add_co_u32 v60, s0, 0x1800, v68
	v_add_co_ci_u32_e64 v61, s0, 0, v69, s0
	v_add_co_u32 v68, s0, 0x1a30, v68
	v_add_co_ci_u32_e64 v69, s0, 0, v69, s0
	s_waitcnt lgkmcnt(0)
	v_mul_f32_e32 v62, v71, v53
	v_mul_f32_e32 v113, v70, v53
	v_fma_f32 v112, v70, v52, -v62
	global_load_dwordx4 v[60:63], v[60:61], off offset:560
	v_fmac_f32_e32 v113, v71, v52
	v_add_f32_e32 v230, v112, v110
	v_add_f32_e32 v234, v113, v111
	s_waitcnt vmcnt(0)
	v_mul_f32_e32 v70, v73, v61
	v_mul_f32_e32 v80, v72, v61
	v_fma_f32 v79, v72, v60, -v70
	v_fmac_f32_e32 v80, v73, v60
	ds_read2_b64 v[70:73], v82 offset0:192 offset1:248
	s_waitcnt lgkmcnt(0)
	v_mul_f32_e32 v74, v73, v45
	v_mul_f32_e32 v105, v72, v45
	;; [unrolled: 1-line block ×3, first 2 shown]
	v_fma_f32 v104, v72, v44, -v74
	v_mul_f32_e32 v72, v71, v63
	v_fmac_f32_e32 v105, v73, v44
	v_fmac_f32_e32 v86, v71, v62
	v_add_f32_e32 v224, v104, v100
	v_fma_f32 v81, v70, v62, -v72
	v_mul_f32_e32 v70, v91, v57
	v_add_f32_e32 v228, v105, v101
	v_sub_f32_e32 v100, v100, v104
	v_sub_f32_e32 v101, v101, v105
	v_fma_f32 v114, v90, v56, -v70
	s_clause 0x1
	global_load_dwordx4 v[72:75], v[68:69], off offset:16
	global_load_dwordx4 v[68:71], v[68:69], off offset:32
	ds_read_b64 v[96:97], v171 offset:8960
	v_add_f32_e32 v232, v114, v108
	s_waitcnt vmcnt(1)
	v_mul_f32_e32 v90, v93, v73
	v_mul_f32_e32 v117, v92, v73
	s_waitcnt vmcnt(0) lgkmcnt(0)
	v_mul_f32_e32 v238, v97, v71
	v_mul_f32_e32 v239, v96, v71
	v_fma_f32 v116, v92, v72, -v90
	v_fmac_f32_e32 v117, v93, v72
	ds_read2_b64 v[90:93], v87 offset0:16 offset1:72
	v_fma_f32 v238, v96, v70, -v238
	v_fmac_f32_e32 v239, v97, v70
	v_add_f32_e32 v240, v79, v238
	v_add_f32_e32 v244, v80, v239
	s_waitcnt lgkmcnt(0)
	v_mul_f32_e32 v94, v93, v65
	v_mul_f32_e32 v107, v92, v65
	;; [unrolled: 1-line block ×3, first 2 shown]
	v_fma_f32 v106, v92, v64, -v94
	v_mul_f32_e32 v92, v91, v75
	v_fmac_f32_e32 v107, v93, v64
	v_fmac_f32_e32 v169, v91, v74
	v_add_f32_e32 v223, v98, v106
	v_fma_f32 v118, v90, v74, -v92
	ds_read2_b64 v[90:93], v87 offset0:128 offset1:184
	v_add_f32_e32 v227, v99, v107
	v_add_f32_e32 v246, v117, v169
	v_sub_f32_e32 v97, v99, v107
	v_add_f32_e32 v242, v116, v118
	v_sub_f32_e32 v105, v224, v223
	v_sub_f32_e32 v107, v228, v227
	s_waitcnt lgkmcnt(0)
	v_mul_f32_e32 v94, v91, v49
	v_mul_f32_e32 v217, v90, v49
	;; [unrolled: 1-line block ×3, first 2 shown]
	v_fma_f32 v170, v90, v48, -v94
	v_mul_f32_e32 v90, v93, v69
	v_fmac_f32_e32 v217, v91, v48
	v_fmac_f32_e32 v219, v93, v68
	v_add_f32_e32 v231, v88, v170
	v_fma_f32 v218, v92, v68, -v90
	ds_read2_b64 v[90:93], v171 offset0:112 offset1:168
	v_add_f32_e32 v235, v89, v217
	v_add_f32_e32 v245, v86, v219
	v_sub_f32_e32 v88, v88, v170
	v_add_f32_e32 v241, v81, v218
	v_sub_f32_e32 v89, v89, v217
	v_sub_f32_e32 v81, v81, v218
	;; [unrolled: 1-line block ×3, first 2 shown]
	v_add_f32_e32 v96, v241, v240
	v_add_f32_e32 v243, v242, v96
	;; [unrolled: 1-line block ×3, first 2 shown]
	s_waitcnt lgkmcnt(0)
	v_mul_f32_e32 v94, v93, v41
	v_mul_f32_e32 v221, v92, v41
	v_add_f32_e32 v247, v246, v96
	v_sub_f32_e32 v96, v98, v106
	v_add_f32_e32 v90, v90, v243
	v_fma_f32 v220, v92, v40, -v94
	v_fmac_f32_e32 v221, v93, v40
	v_add_f32_e32 v91, v91, v247
	v_sub_f32_e32 v99, v100, v96
	v_add_f32_e32 v98, v100, v96
	v_add_f32_e32 v222, v220, v102
	;; [unrolled: 1-line block ×3, first 2 shown]
	v_sub_f32_e32 v102, v220, v102
	v_sub_f32_e32 v103, v221, v103
	v_mul_f32_e32 v249, 0xbf08b237, v99
	v_add_f32_e32 v92, v223, v222
	v_sub_f32_e32 v104, v223, v222
	v_sub_f32_e32 v220, v96, v102
	;; [unrolled: 1-line block ×4, first 2 shown]
	v_add_f32_e32 v225, v224, v92
	v_add_f32_e32 v92, v227, v226
	v_sub_f32_e32 v224, v226, v228
	v_sub_f32_e32 v106, v227, v226
	v_add_f32_e32 v96, v101, v97
	v_sub_f32_e32 v221, v101, v97
	v_add_f32_e32 v229, v228, v92
	v_add_f32_e32 v92, v231, v230
	v_fma_f32 v99, 0x3f5ff5aa, v220, -v249
	v_sub_f32_e32 v226, v102, v100
	v_sub_f32_e32 v228, v103, v101
	v_mul_f32_e32 v100, 0x3f5ff5aa, v220
	v_add_f32_e32 v233, v232, v92
	v_add_f32_e32 v92, v235, v234
	v_mul_f32_e32 v101, 0x3f5ff5aa, v223
	v_mul_f32_e32 v220, 0x3f4a47b2, v222
	;; [unrolled: 1-line block ×3, first 2 shown]
	v_add_f32_e32 v227, v98, v102
	v_add_f32_e32 v237, v236, v92
	ds_read2_b64 v[92:95], v171 offset1:56
	v_add_f32_e32 v248, v96, v103
	v_mul_f32_e32 v96, 0x3d64c772, v105
	v_mul_f32_e32 v97, 0x3d64c772, v107
	v_fma_f32 v103, 0xbeae86e6, v226, -v100
	v_fma_f32 v102, 0xbeae86e6, v228, -v101
	;; [unrolled: 1-line block ×4, first 2 shown]
	v_mul_f32_e32 v221, 0xbf08b237, v221
	v_fma_f32 v96, 0x3f3bfb3b, v104, -v96
	v_fma_f32 v97, 0x3f3bfb3b, v106, -v97
	v_fmac_f32_e32 v103, 0x3ee1c552, v227
	v_fmac_f32_e32 v102, 0x3ee1c552, v248
	v_fma_f32 v98, 0x3f5ff5aa, v223, -v221
	v_fmamk_f32 v223, v226, 0x3eae86e6, v249
	v_fmac_f32_e32 v99, 0x3ee1c552, v227
	v_fmac_f32_e32 v98, 0x3ee1c552, v248
	v_fmac_f32_e32 v223, 0x3ee1c552, v227
	s_waitcnt lgkmcnt(0)
	v_add_f32_e32 v92, v92, v225
	v_add_f32_e32 v93, v93, v229
	;; [unrolled: 1-line block ×4, first 2 shown]
	v_fmamk_f32 v225, v225, 0xbf955555, v92
	v_fmamk_f32 v229, v229, 0xbf955555, v93
	v_add_f32_e32 v104, v100, v225
	v_add_f32_e32 v106, v101, v229
	;; [unrolled: 1-line block ×5, first 2 shown]
	v_sub_f32_e32 v101, v106, v103
	v_sub_f32_e32 v102, v104, v102
	v_add_f32_e32 v103, v103, v106
	v_fmamk_f32 v106, v228, 0x3eae86e6, v221
	v_fmamk_f32 v104, v105, 0x3d64c772, v220
	;; [unrolled: 1-line block ×3, first 2 shown]
	v_sub_f32_e32 v96, v250, v98
	v_add_f32_e32 v97, v99, v251
	v_fmac_f32_e32 v106, 0x3ee1c552, v248
	v_add_f32_e32 v107, v104, v225
	v_add_f32_e32 v220, v105, v229
	;; [unrolled: 1-line block ×3, first 2 shown]
	v_sub_f32_e32 v99, v251, v99
	v_add_f32_e32 v104, v106, v107
	v_sub_f32_e32 v105, v220, v223
	v_sub_f32_e32 v106, v107, v106
	v_add_f32_e32 v107, v223, v220
	ds_write_b64 v171, v[104:105] offset:1344
	ds_write_b64 v171, v[100:101] offset:2688
	;; [unrolled: 1-line block ×6, first 2 shown]
	ds_write2_b64 v171, v[92:93], v[94:95] offset1:56
	v_fmamk_f32 v98, v233, 0xbf955555, v94
	v_sub_f32_e32 v94, v112, v110
	v_sub_f32_e32 v96, v108, v114
	;; [unrolled: 1-line block ×3, first 2 shown]
	v_fmamk_f32 v99, v237, 0xbf955555, v95
	v_sub_f32_e32 v95, v113, v111
	v_sub_f32_e32 v101, v232, v231
	v_sub_f32_e32 v103, v236, v235
	v_add_f32_e32 v92, v96, v88
	v_sub_f32_e32 v93, v96, v88
	v_sub_f32_e32 v104, v88, v94
	v_add_f32_e32 v88, v97, v89
	v_sub_f32_e32 v105, v97, v89
	v_sub_f32_e32 v100, v231, v230
	;; [unrolled: 1-line block ×4, first 2 shown]
	v_add_f32_e32 v108, v88, v95
	v_mul_f32_e32 v109, 0xbf08b237, v93
	v_mul_f32_e32 v105, 0xbf08b237, v105
	;; [unrolled: 1-line block ×4, first 2 shown]
	v_add_f32_e32 v107, v92, v94
	v_fma_f32 v93, 0x3f5ff5aa, v104, -v109
	v_fma_f32 v92, 0x3f5ff5aa, v106, -v105
	v_fma_f32 v88, 0x3f3bfb3b, v100, -v88
	v_fma_f32 v89, 0x3f3bfb3b, v102, -v89
	v_sub_f32_e32 v112, v94, v96
	v_fmac_f32_e32 v93, 0x3ee1c552, v107
	v_fmac_f32_e32 v92, 0x3ee1c552, v108
	v_add_f32_e32 v110, v88, v98
	v_add_f32_e32 v111, v89, v99
	v_sub_f32_e32 v113, v95, v97
	v_mul_f32_e32 v94, 0x3f5ff5aa, v104
	v_mul_f32_e32 v95, 0x3f5ff5aa, v106
	v_sub_f32_e32 v88, v110, v92
	v_add_f32_e32 v89, v93, v111
	v_add_f32_e32 v92, v92, v110
	v_sub_f32_e32 v93, v111, v93
	v_sub_f32_e32 v110, v230, v232
	;; [unrolled: 1-line block ×3, first 2 shown]
	v_fma_f32 v97, 0xbeae86e6, v112, -v94
	v_fma_f32 v96, 0xbeae86e6, v113, -v95
	v_mul_f32_e32 v104, 0x3f4a47b2, v110
	v_mul_f32_e32 v106, 0x3f4a47b2, v111
	v_fmac_f32_e32 v97, 0x3ee1c552, v107
	v_fmac_f32_e32 v96, 0x3ee1c552, v108
	v_fma_f32 v94, 0xbf3bfb3b, v100, -v104
	v_fma_f32 v95, 0xbf3bfb3b, v102, -v106
	v_fmamk_f32 v101, v101, 0x3d64c772, v104
	v_fmamk_f32 v103, v103, 0x3d64c772, v106
	v_add_f32_e32 v100, v94, v98
	v_add_f32_e32 v102, v95, v99
	v_add_f32_e32 v101, v101, v98
	v_add_f32_e32 v103, v103, v99
	v_add_f32_e32 v94, v96, v100
	v_sub_f32_e32 v95, v102, v97
	v_sub_f32_e32 v96, v100, v96
	v_add_f32_e32 v97, v97, v102
	v_fmamk_f32 v102, v112, 0x3eae86e6, v109
	v_fmamk_f32 v100, v113, 0x3eae86e6, v105
	v_fmac_f32_e32 v102, 0x3ee1c552, v107
	v_fmac_f32_e32 v100, 0x3ee1c552, v108
	v_sub_f32_e32 v99, v103, v102
	v_add_f32_e32 v98, v100, v101
	v_sub_f32_e32 v100, v101, v100
	v_add_f32_e32 v101, v102, v103
	ds_write_b64 v171, v[94:95] offset:3136
	ds_write_b64 v171, v[88:89] offset:4480
	;; [unrolled: 1-line block ×5, first 2 shown]
	v_fmamk_f32 v92, v243, 0xbf955555, v90
	ds_write_b64 v171, v[90:91] offset:896
	v_sub_f32_e32 v88, v79, v238
	v_sub_f32_e32 v89, v80, v239
	;; [unrolled: 1-line block ×5, first 2 shown]
	v_fmamk_f32 v93, v247, 0xbf955555, v91
	v_sub_f32_e32 v91, v242, v241
	v_sub_f32_e32 v94, v244, v246
	v_add_f32_e32 v96, v79, v81
	v_sub_f32_e32 v97, v79, v81
	v_sub_f32_e32 v100, v88, v79
	v_add_f32_e32 v79, v80, v86
	v_sub_f32_e32 v101, v80, v86
	v_mul_f32_e32 v90, 0x3f4a47b2, v90
	v_sub_f32_e32 v95, v246, v245
	v_sub_f32_e32 v102, v89, v80
	v_mul_f32_e32 v97, 0xbf08b237, v97
	v_add_f32_e32 v103, v79, v89
	v_mul_f32_e32 v94, 0x3f4a47b2, v94
	v_mul_f32_e32 v101, 0xbf08b237, v101
	v_fmamk_f32 v79, v91, 0x3d64c772, v90
	v_add_f32_e32 v96, v96, v88
	v_fmamk_f32 v104, v100, 0x3eae86e6, v97
	v_sub_f32_e32 v86, v86, v89
	v_fmamk_f32 v105, v102, 0x3eae86e6, v101
	v_add_f32_e32 v106, v79, v92
	v_fmamk_f32 v79, v95, 0x3d64c772, v94
	v_fmac_f32_e32 v104, 0x3ee1c552, v96
	v_sub_f32_e32 v81, v81, v88
	v_fmac_f32_e32 v105, 0x3ee1c552, v103
	v_fma_f32 v88, 0x3f5ff5aa, v86, -v101
	v_add_f32_e32 v107, v79, v93
	v_mul_f32_e32 v86, 0x3f5ff5aa, v86
	v_fma_f32 v89, 0x3f5ff5aa, v81, -v97
	v_add_f32_e32 v79, v105, v106
	v_fmac_f32_e32 v88, 0x3ee1c552, v103
	v_sub_f32_e32 v80, v107, v104
	v_mul_f32_e32 v81, 0x3f5ff5aa, v81
	v_fma_f32 v86, 0xbeae86e6, v102, -v86
	v_fmac_f32_e32 v89, 0x3ee1c552, v96
	v_sub_f32_e32 v169, v106, v105
	ds_write2_b64 v84, v[98:99], v[79:80] offset0:96 offset1:152
	v_sub_f32_e32 v98, v241, v240
	v_mul_f32_e32 v79, 0x3d64c772, v91
	v_sub_f32_e32 v99, v245, v244
	v_mul_f32_e32 v80, 0x3d64c772, v95
	v_fma_f32 v81, 0xbeae86e6, v100, -v81
	v_fma_f32 v90, 0xbf3bfb3b, v98, -v90
	;; [unrolled: 1-line block ×3, first 2 shown]
	v_fmac_f32_e32 v86, 0x3ee1c552, v103
	v_fma_f32 v80, 0x3f3bfb3b, v99, -v80
	v_fmac_f32_e32 v81, 0x3ee1c552, v96
	v_add_f32_e32 v170, v104, v107
	v_add_f32_e32 v91, v79, v92
	v_add_f32_e32 v92, v90, v92
	v_add_f32_e32 v95, v80, v93
	v_sub_f32_e32 v79, v91, v88
	v_add_f32_e32 v88, v88, v91
	v_fma_f32 v91, 0xbf3bfb3b, v99, -v94
	v_add_f32_e32 v90, v86, v92
	v_sub_f32_e32 v92, v92, v86
	v_lshlrev_b32_e32 v86, 3, v173
	v_add_f32_e32 v80, v89, v95
	v_add_f32_e32 v93, v91, v93
	v_sub_f32_e32 v89, v95, v89
	v_add_co_u32 v118, s0, s2, v86
	v_sub_f32_e32 v91, v93, v81
	v_add_f32_e32 v93, v81, v93
	ds_write_b64 v171, v[90:91] offset:3584
	ds_write_b64 v171, v[79:80] offset:4928
	;; [unrolled: 1-line block ×5, first 2 shown]
	s_waitcnt lgkmcnt(0)
	s_barrier
	buffer_gl0_inv
	s_clause 0x3
	global_load_dwordx2 v[88:89], v86, s[2:3] offset:448
	global_load_dwordx2 v[92:93], v86, s[2:3] offset:896
	global_load_dwordx2 v[94:95], v78, s[2:3]
	global_load_dwordx2 v[90:91], v86, s[2:3]
	ds_read2_b64 v[78:81], v171 offset1:56
	v_add_co_ci_u32_e64 v225, null, s3, 0, s0
	s_waitcnt vmcnt(3) lgkmcnt(0)
	v_mul_f32_e32 v99, v80, v89
	s_waitcnt vmcnt(0)
	v_mul_f32_e32 v96, v79, v91
	v_mul_f32_e32 v97, v78, v91
	v_fmac_f32_e32 v99, v81, v88
	v_fma_f32 v96, v78, v90, -v96
	v_mul_f32_e32 v78, v81, v89
	v_fmac_f32_e32 v97, v79, v90
	v_fma_f32 v98, v80, v88, -v78
	v_add_co_u32 v78, s0, 0x1000, v118
	v_add_co_ci_u32_e64 v79, s0, 0, v225, s0
	ds_write_b64 v171, v[96:97]
	s_clause 0x2
	global_load_dwordx2 v[80:81], v[78:79], off offset:608
	global_load_dwordx2 v[96:97], v[78:79], off offset:1056
	global_load_dwordx2 v[100:101], v86, s[2:3] offset:1792
	ds_read2_b64 v[88:91], v83 offset0:76 offset1:132
	s_waitcnt vmcnt(2) lgkmcnt(0)
	v_mul_f32_e32 v102, v89, v81
	v_mul_f32_e32 v103, v88, v81
	s_waitcnt vmcnt(1)
	v_mul_f32_e32 v105, v90, v97
	v_fma_f32 v102, v88, v80, -v102
	v_fmac_f32_e32 v103, v89, v80
	v_mul_f32_e32 v80, v91, v97
	v_fmac_f32_e32 v105, v91, v96
	v_fma_f32 v104, v90, v96, -v80
	ds_read2_b64 v[88:91], v171 offset0:112 offset1:168
	s_waitcnt lgkmcnt(0)
	v_mul_f32_e32 v80, v89, v93
	v_mul_f32_e32 v97, v88, v93
	v_fma_f32 v96, v88, v92, -v80
	global_load_dwordx2 v[80:81], v86, s[2:3] offset:1344
	v_fmac_f32_e32 v97, v89, v92
	v_add_co_u32 v92, s0, 0x1800, v118
	v_add_co_ci_u32_e64 v93, s0, 0, v225, s0
	s_waitcnt vmcnt(0)
	v_mul_f32_e32 v86, v91, v81
	v_mul_f32_e32 v107, v90, v81
	v_fma_f32 v106, v90, v80, -v86
	v_fmac_f32_e32 v107, v91, v80
	s_clause 0x3
	global_load_dwordx2 v[80:81], v[78:79], off offset:1504
	global_load_dwordx2 v[108:109], v[78:79], off offset:1952
	;; [unrolled: 1-line block ×4, first 2 shown]
	ds_read2_b64 v[88:91], v83 offset0:188 offset1:244
	s_waitcnt vmcnt(3) lgkmcnt(0)
	v_mul_f32_e32 v86, v89, v81
	v_mul_f32_e32 v115, v88, v81
	s_waitcnt vmcnt(2)
	v_mul_f32_e32 v117, v90, v109
	v_fma_f32 v114, v88, v80, -v86
	v_fmac_f32_e32 v115, v89, v80
	v_mul_f32_e32 v80, v91, v109
	v_fmac_f32_e32 v117, v91, v108
	v_fma_f32 v116, v90, v108, -v80
	ds_read2_b64 v[88:91], v84 offset0:96 offset1:152
	s_waitcnt lgkmcnt(0)
	v_mul_f32_e32 v80, v89, v101
	v_mul_f32_e32 v109, v88, v101
	v_fma_f32 v108, v88, v100, -v80
	v_fmac_f32_e32 v109, v89, v100
	v_add_co_u32 v100, s0, 0x800, v118
	v_add_co_ci_u32_e64 v101, s0, 0, v225, s0
	s_clause 0x2
	global_load_dwordx2 v[80:81], v[100:101], off offset:192
	global_load_dwordx2 v[217:218], v[100:101], off offset:640
	;; [unrolled: 1-line block ×3, first 2 shown]
	s_waitcnt vmcnt(2)
	v_mul_f32_e32 v86, v91, v81
	v_mul_f32_e32 v222, v90, v81
	v_fma_f32 v221, v90, v80, -v86
	v_fmac_f32_e32 v222, v91, v80
	ds_read2_b64 v[88:91], v87 offset0:44 offset1:100
	s_waitcnt lgkmcnt(0)
	v_mul_f32_e32 v80, v89, v111
	v_mul_f32_e32 v224, v88, v111
	;; [unrolled: 1-line block ×3, first 2 shown]
	v_fma_f32 v223, v88, v110, -v80
	v_mul_f32_e32 v80, v91, v113
	v_fmac_f32_e32 v224, v89, v110
	v_fmac_f32_e32 v111, v91, v112
	v_fma_f32 v110, v90, v112, -v80
	ds_read2_b64 v[88:91], v82 offset0:80 offset1:136
	s_waitcnt vmcnt(1) lgkmcnt(0)
	v_mul_f32_e32 v80, v89, v218
	v_mul_f32_e32 v113, v88, v218
	v_fma_f32 v112, v88, v217, -v80
	v_add_co_u32 v80, s0, 0x2000, v118
	v_add_co_ci_u32_e64 v81, s0, 0, v225, s0
	v_fmac_f32_e32 v113, v89, v217
	s_clause 0x3
	global_load_dwordx2 v[88:89], v[100:101], off offset:1088
	global_load_dwordx2 v[217:218], v[80:81], off offset:544
	;; [unrolled: 1-line block ×4, first 2 shown]
	s_waitcnt vmcnt(3)
	v_mul_f32_e32 v86, v91, v89
	v_mul_f32_e32 v226, v90, v89
	v_fma_f32 v225, v90, v88, -v86
	v_fmac_f32_e32 v226, v91, v88
	ds_read2_b64 v[88:91], v87 offset0:156 offset1:212
	s_waitcnt vmcnt(0) lgkmcnt(0)
	v_mul_f32_e32 v86, v89, v93
	v_mul_f32_e32 v228, v88, v93
	;; [unrolled: 1-line block ×3, first 2 shown]
	v_fma_f32 v227, v88, v92, -v86
	v_mul_f32_e32 v86, v91, v220
	v_fmac_f32_e32 v228, v89, v92
	v_fmac_f32_e32 v230, v91, v219
	v_fma_f32 v229, v90, v219, -v86
	ds_read2_b64 v[88:91], v82 offset0:192 offset1:248
	s_waitcnt lgkmcnt(0)
	v_mul_f32_e32 v86, v89, v95
	v_mul_f32_e32 v220, v88, v95
	v_fma_f32 v219, v88, v94, -v86
	v_fmac_f32_e32 v220, v89, v94
	v_mul_f32_e32 v86, v91, v101
	v_mul_f32_e32 v94, v90, v101
	v_add_nc_u32_e32 v88, 0x2000, v171
	v_fma_f32 v93, v90, v100, -v86
	v_fmac_f32_e32 v94, v91, v100
	global_load_dwordx2 v[100:101], v[80:81], off offset:96
	ds_read2_b64 v[89:92], v88 offset0:12 offset1:68
	s_waitcnt vmcnt(0) lgkmcnt(0)
	v_mul_f32_e32 v86, v90, v101
	v_mul_f32_e32 v232, v89, v101
	v_fma_f32 v231, v89, v100, -v86
	v_mul_f32_e32 v86, v92, v218
	v_fmac_f32_e32 v232, v90, v100
	v_mul_f32_e32 v90, v91, v218
	v_fma_f32 v89, v91, v217, -v86
	v_add_nc_u32_e32 v86, 0x1400, v171
	ds_write2_b64 v86, v[116:117], v[223:224] offset0:116 offset1:172
	ds_write2_b64 v85, v[229:230], v[231:232] offset0:84 offset1:140
	v_add_nc_u32_e32 v85, 0xc00, v171
	v_fmac_f32_e32 v90, v92, v217
	ds_write2_b64 v85, v[93:94], v[102:103] offset0:120 offset1:204
	ds_write2_b64 v171, v[98:99], v[96:97] offset0:56 offset1:112
	;; [unrolled: 1-line block ×7, first 2 shown]
	ds_write_b64 v171, v[89:90] offset:8736
	s_and_saveexec_b32 s0, vcc_lo
	s_cbranch_execz .LBB0_17
; %bb.16:
	s_clause 0x1
	global_load_dwordx2 v[78:79], v[78:79], off offset:384
	global_load_dwordx2 v[80:81], v[80:81], off offset:992
	ds_read_b64 v[85:86], v171 offset:4480
	ds_read_b64 v[89:90], v171 offset:9184
	s_waitcnt vmcnt(1) lgkmcnt(1)
	v_mul_f32_e32 v91, v86, v79
	v_mul_f32_e32 v92, v85, v79
	s_waitcnt vmcnt(0) lgkmcnt(0)
	v_mul_f32_e32 v93, v90, v81
	v_mul_f32_e32 v79, v89, v81
	v_fma_f32 v91, v85, v78, -v91
	v_fmac_f32_e32 v92, v86, v78
	v_fma_f32 v78, v89, v80, -v93
	v_fmac_f32_e32 v79, v90, v80
	ds_write_b64 v171, v[91:92] offset:4480
	ds_write_b64 v171, v[78:79] offset:9184
.LBB0_17:
	s_or_b32 exec_lo, exec_lo, s0
	s_waitcnt lgkmcnt(0)
	s_barrier
	buffer_gl0_inv
	ds_read2_b64 v[103:106], v171 offset1:56
	ds_read2_b64 v[115:118], v83 offset0:76 offset1:132
	ds_read2_b64 v[95:98], v171 offset0:112 offset1:168
	ds_read2_b64 v[111:114], v83 offset0:188 offset1:244
	ds_read2_b64 v[91:94], v84 offset0:96 offset1:152
	ds_read2_b64 v[107:110], v87 offset0:44 offset1:100
	ds_read2_b64 v[83:86], v82 offset0:80 offset1:136
	ds_read2_b64 v[99:102], v87 offset0:156 offset1:212
	ds_read2_b64 v[79:82], v82 offset0:192 offset1:248
	ds_read2_b64 v[87:90], v88 offset0:12 offset1:68
	v_lshlrev_b32_e32 v217, 3, v198
	v_lshlrev_b32_e32 v198, 3, v202
	s_and_saveexec_b32 s0, vcc_lo
	s_cbranch_execz .LBB0_19
; %bb.18:
	ds_read_b64 v[169:170], v171 offset:4480
	ds_read_b64 v[76:77], v171 offset:9184
.LBB0_19:
	s_or_b32 exec_lo, exec_lo, s0
	s_waitcnt lgkmcnt(8)
	v_sub_f32_e32 v117, v105, v117
	v_sub_f32_e32 v118, v106, v118
	s_waitcnt lgkmcnt(2)
	v_sub_f32_e32 v228, v85, v101
	s_waitcnt lgkmcnt(0)
	v_sub_f32_e32 v87, v79, v87
	v_sub_f32_e32 v220, v103, v115
	;; [unrolled: 1-line block ×5, first 2 shown]
	v_fma_f32 v115, v105, 2.0, -v117
	v_sub_f32_e32 v105, v97, v113
	v_fma_f32 v116, v106, 2.0, -v118
	v_sub_f32_e32 v106, v98, v114
	v_sub_f32_e32 v99, v83, v99
	;; [unrolled: 1-line block ×3, first 2 shown]
	v_fma_f32 v226, v85, 2.0, -v228
	v_fma_f32 v85, v79, 2.0, -v87
	v_sub_f32_e32 v78, v169, v76
	v_sub_f32_e32 v79, v170, v77
	;; [unrolled: 1-line block ×4, first 2 shown]
	v_fma_f32 v218, v103, 2.0, -v220
	v_fma_f32 v219, v104, 2.0, -v221
	;; [unrolled: 1-line block ×5, first 2 shown]
	v_sub_f32_e32 v95, v93, v109
	v_fma_f32 v104, v98, 2.0, -v106
	v_sub_f32_e32 v96, v94, v110
	v_sub_f32_e32 v229, v86, v102
	v_fma_f32 v97, v83, 2.0, -v99
	v_fma_f32 v98, v84, 2.0, -v100
	v_sub_f32_e32 v88, v80, v88
	v_sub_f32_e32 v83, v81, v89
	;; [unrolled: 1-line block ×3, first 2 shown]
	v_fma_f32 v76, v169, 2.0, -v78
	v_fma_f32 v77, v170, 2.0, -v79
	;; [unrolled: 1-line block ×10, first 2 shown]
	s_barrier
	buffer_gl0_inv
	ds_write_b128 v119, v[218:221]
	ds_write_b128 v177, v[115:118]
	;; [unrolled: 1-line block ×10, first 2 shown]
	s_and_saveexec_b32 s0, vcc_lo
	s_cbranch_execz .LBB0_21
; %bb.20:
	ds_write_b128 v183, v[76:79]
.LBB0_21:
	s_or_b32 exec_lo, exec_lo, s0
	v_add_nc_u32_e32 v80, 0x1000, v171
	v_add_nc_u32_e32 v82, 0x1800, v171
	;; [unrolled: 1-line block ×5, first 2 shown]
	s_waitcnt lgkmcnt(0)
	s_barrier
	buffer_gl0_inv
	ds_read2_b64 v[84:87], v171 offset1:56
	ds_read2_b64 v[108:111], v80 offset0:76 offset1:132
	ds_read2_b64 v[88:91], v171 offset0:112 offset1:168
	ds_read2_b64 v[116:119], v80 offset0:188 offset1:244
	ds_read2_b64 v[92:95], v81 offset0:96 offset1:152
	ds_read2_b64 v[112:115], v82 offset0:44 offset1:100
	ds_read2_b64 v[96:99], v83 offset0:80 offset1:136
	ds_read2_b64 v[104:107], v82 offset0:156 offset1:212
	ds_read2_b64 v[80:83], v83 offset0:192 offset1:248
	ds_read2_b64 v[100:103], v100 offset0:12 offset1:68
	s_and_saveexec_b32 s0, vcc_lo
	s_cbranch_execz .LBB0_23
; %bb.22:
	ds_read_b64 v[76:77], v171 offset:4480
	ds_read_b64 v[78:79], v171 offset:9184
.LBB0_23:
	s_or_b32 exec_lo, exec_lo, s0
	s_waitcnt lgkmcnt(8)
	v_mul_f32_e32 v169, v168, v109
	v_mul_f32_e32 v170, v168, v108
	;; [unrolled: 1-line block ×4, first 2 shown]
	s_waitcnt lgkmcnt(0)
	v_mul_f32_e32 v179, v168, v103
	v_fmac_f32_e32 v169, v167, v108
	v_fma_f32 v108, v167, v109, -v170
	v_mul_f32_e32 v170, v168, v119
	v_fmac_f32_e32 v177, v167, v110
	v_mul_f32_e32 v109, v168, v117
	v_fma_f32 v110, v167, v111, -v178
	v_mul_f32_e32 v178, v168, v118
	v_fmac_f32_e32 v170, v167, v118
	v_mul_f32_e32 v118, v168, v112
	v_mul_f32_e32 v111, v168, v116
	v_fmac_f32_e32 v109, v167, v116
	v_mul_f32_e32 v116, v168, v113
	v_fmac_f32_e32 v179, v167, v102
	v_fma_f32 v113, v167, v113, -v118
	v_mul_f32_e32 v118, v168, v104
	v_fma_f32 v111, v167, v117, -v111
	v_fma_f32 v117, v167, v119, -v178
	v_fmac_f32_e32 v116, v167, v112
	v_mul_f32_e32 v112, v168, v115
	v_mul_f32_e32 v119, v168, v114
	;; [unrolled: 1-line block ×3, first 2 shown]
	v_fma_f32 v118, v167, v105, -v118
	v_mul_f32_e32 v105, v168, v100
	v_fmac_f32_e32 v112, v167, v114
	v_fma_f32 v114, v167, v115, -v119
	v_mul_f32_e32 v119, v168, v101
	v_mul_f32_e32 v182, v168, v79
	v_fma_f32 v181, v167, v101, -v105
	v_mul_f32_e32 v101, v168, v102
	v_mul_f32_e32 v102, v168, v78
	v_fmac_f32_e32 v178, v167, v104
	v_mul_f32_e32 v115, v168, v107
	v_mul_f32_e32 v104, v168, v106
	v_fmac_f32_e32 v119, v167, v100
	v_sub_f32_e32 v100, v84, v169
	v_fmac_f32_e32 v182, v167, v78
	v_fma_f32 v169, v167, v79, -v102
	v_fma_f32 v168, v167, v103, -v101
	v_sub_f32_e32 v101, v85, v108
	v_fmac_f32_e32 v115, v167, v106
	v_fma_f32 v180, v167, v107, -v104
	v_sub_f32_e32 v102, v88, v109
	v_sub_f32_e32 v103, v89, v111
	;; [unrolled: 1-line block ×7, first 2 shown]
	v_fma_f32 v78, v84, 2.0, -v100
	v_sub_f32_e32 v84, v86, v177
	v_fma_f32 v79, v85, 2.0, -v101
	v_sub_f32_e32 v85, v87, v110
	v_sub_f32_e32 v104, v90, v170
	;; [unrolled: 1-line block ×12, first 2 shown]
	v_fma_f32 v116, v76, 2.0, -v118
	v_fma_f32 v117, v77, 2.0, -v119
	;; [unrolled: 1-line block ×20, first 2 shown]
	s_barrier
	buffer_gl0_inv
	ds_write2_b64 v194, v[78:79], v[100:101] offset1:2
	ds_write2_b64 v193, v[86:87], v[84:85] offset1:2
	;; [unrolled: 1-line block ×10, first 2 shown]
	s_and_saveexec_b32 s0, vcc_lo
	s_cbranch_execz .LBB0_25
; %bb.24:
	v_and_or_b32 v76, 0x4fc, v174, v175
	v_lshlrev_b32_e32 v76, 3, v76
	ds_write2_b64 v76, v[116:117], v[118:119] offset1:2
.LBB0_25:
	s_or_b32 exec_lo, exec_lo, s0
	v_add_nc_u32_e32 v76, 0x1000, v171
	v_add_nc_u32_e32 v78, 0x1800, v171
	;; [unrolled: 1-line block ×5, first 2 shown]
	s_waitcnt lgkmcnt(0)
	s_barrier
	buffer_gl0_inv
	ds_read2_b64 v[92:95], v171 offset1:56
	ds_read2_b64 v[108:111], v76 offset0:76 offset1:132
	ds_read2_b64 v[88:91], v171 offset0:112 offset1:168
	;; [unrolled: 1-line block ×9, first 2 shown]
	s_and_saveexec_b32 s0, vcc_lo
	s_cbranch_execz .LBB0_27
; %bb.26:
	ds_read_b64 v[116:117], v171 offset:4480
	ds_read_b64 v[118:119], v171 offset:9184
.LBB0_27:
	s_or_b32 exec_lo, exec_lo, s0
	s_waitcnt lgkmcnt(8)
	v_mul_f32_e32 v169, v166, v111
	v_mul_f32_e32 v170, v166, v110
	;; [unrolled: 1-line block ×4, first 2 shown]
	s_waitcnt lgkmcnt(6)
	v_mul_f32_e32 v175, v166, v113
	v_fmac_f32_e32 v169, v165, v110
	v_mul_f32_e32 v110, v166, v112
	v_fmac_f32_e32 v167, v165, v108
	v_fma_f32 v108, v165, v109, -v168
	v_fmac_f32_e32 v175, v165, v112
	v_mul_f32_e32 v112, v166, v114
	v_fma_f32 v110, v165, v113, -v110
	s_waitcnt lgkmcnt(4)
	v_mul_f32_e32 v113, v166, v104
	v_mul_f32_e32 v168, v166, v105
	v_fma_f32 v109, v165, v111, -v170
	v_mul_f32_e32 v111, v166, v115
	v_fma_f32 v112, v165, v115, -v112
	v_fma_f32 v105, v165, v105, -v113
	s_waitcnt lgkmcnt(2)
	v_mul_f32_e32 v113, v166, v101
	v_mul_f32_e32 v115, v166, v100
	v_fmac_f32_e32 v111, v165, v114
	v_fmac_f32_e32 v168, v165, v104
	v_mul_f32_e32 v114, v166, v107
	v_fmac_f32_e32 v113, v165, v100
	v_mul_f32_e32 v100, v166, v102
	v_mul_f32_e32 v104, v166, v106
	v_mul_f32_e32 v170, v166, v103
	v_fma_f32 v115, v165, v101, -v115
	s_waitcnt lgkmcnt(0)
	v_mul_f32_e32 v177, v166, v97
	v_mul_f32_e32 v101, v166, v96
	;; [unrolled: 1-line block ×3, first 2 shown]
	v_fma_f32 v179, v165, v103, -v100
	v_mul_f32_e32 v100, v166, v98
	v_fmac_f32_e32 v114, v165, v106
	v_fma_f32 v107, v165, v107, -v104
	v_fmac_f32_e32 v170, v165, v102
	v_fmac_f32_e32 v177, v165, v96
	v_fma_f32 v180, v165, v97, -v101
	v_fmac_f32_e32 v178, v165, v98
	v_sub_f32_e32 v96, v92, v167
	v_fma_f32 v167, v165, v99, -v100
	v_sub_f32_e32 v97, v93, v108
	v_sub_f32_e32 v98, v94, v169
	;; [unrolled: 1-line block ×9, first 2 shown]
	v_fma_f32 v92, v92, 2.0, -v96
	v_fma_f32 v93, v93, 2.0, -v97
	v_sub_f32_e32 v106, v82, v114
	v_sub_f32_e32 v107, v83, v107
	v_sub_f32_e32 v108, v84, v113
	v_sub_f32_e32 v109, v85, v115
	v_sub_f32_e32 v110, v86, v170
	v_sub_f32_e32 v111, v87, v179
	v_sub_f32_e32 v112, v76, v177
	v_sub_f32_e32 v113, v77, v180
	v_sub_f32_e32 v114, v78, v178
	v_sub_f32_e32 v115, v79, v167
	v_fma_f32 v94, v94, 2.0, -v98
	v_fma_f32 v95, v95, 2.0, -v99
	;; [unrolled: 1-line block ×18, first 2 shown]
	s_barrier
	buffer_gl0_inv
	ds_write2_b64 v206, v[92:93], v[96:97] offset1:4
	ds_write2_b64 v205, v[94:95], v[98:99] offset1:4
	;; [unrolled: 1-line block ×10, first 2 shown]
	s_and_saveexec_b32 s0, vcc_lo
	s_cbranch_execz .LBB0_29
; %bb.28:
	v_mul_f32_e32 v76, v166, v118
	v_mul_f32_e32 v78, v166, v119
	v_and_or_b32 v80, 0x4f8, v174, v176
	v_fma_f32 v76, v165, v119, -v76
	v_fmac_f32_e32 v78, v165, v118
	v_lshlrev_b32_e32 v80, 3, v80
	v_sub_f32_e32 v77, v117, v76
	v_sub_f32_e32 v76, v116, v78
	v_fma_f32 v79, v117, 2.0, -v77
	v_fma_f32 v78, v116, 2.0, -v76
	ds_write2_b64 v80, v[78:79], v[76:77] offset1:4
.LBB0_29:
	s_or_b32 exec_lo, exec_lo, s0
	v_add_nc_u32_e32 v76, 0x800, v171
	v_add_nc_u32_e32 v77, 0x1800, v171
	s_waitcnt lgkmcnt(0)
	s_barrier
	buffer_gl0_inv
	ds_read2_b64 v[81:84], v76 offset0:80 offset1:136
	ds_read2_b64 v[85:88], v77 offset0:16 offset1:72
	;; [unrolled: 1-line block ×3, first 2 shown]
	ds_read2_b64 v[93:96], v171 offset1:56
	ds_read2_b64 v[97:100], v171 offset0:112 offset1:168
	v_add_nc_u32_e32 v79, 0x1000, v171
	v_add_nc_u32_e32 v78, 0x400, v171
	;; [unrolled: 1-line block ×3, first 2 shown]
	ds_read_b64 v[117:118], v171 offset:8960
	ds_read2_b64 v[101:104], v77 offset0:128 offset1:184
	ds_read2_b64 v[105:108], v79 offset0:48 offset1:104
	;; [unrolled: 1-line block ×5, first 2 shown]
	s_waitcnt lgkmcnt(0)
	s_barrier
	buffer_gl0_inv
	s_mov_b32 s2, 0x899406f7
	s_mov_b32 s3, 0x3f4bdd2b
	s_mul_hi_u32 s1, s8, 0x24c
	v_mul_f32_e32 v119, v1, v84
	v_mul_f32_e32 v170, v3, v86
	;; [unrolled: 1-line block ×6, first 2 shown]
	v_fmac_f32_e32 v170, v2, v85
	v_mul_f32_e32 v85, v3, v87
	v_fmac_f32_e32 v119, v0, v83
	v_fma_f32 v83, v0, v84, -v169
	v_fma_f32 v84, v2, v86, -v174
	v_fmac_f32_e32 v177, v2, v87
	v_mul_f32_e32 v87, v1, v91
	v_fma_f32 v88, v2, v88, -v85
	v_mul_f32_e32 v174, v3, v102
	v_mul_f32_e32 v85, v3, v101
	;; [unrolled: 1-line block ×3, first 2 shown]
	v_fma_f32 v86, v0, v90, -v176
	v_mul_f32_e32 v169, v1, v92
	v_fma_f32 v90, v0, v92, -v87
	v_fmac_f32_e32 v174, v2, v101
	v_mul_f32_e32 v87, v1, v105
	v_fma_f32 v92, v2, v102, -v85
	v_mul_f32_e32 v101, v3, v104
	v_mul_f32_e32 v85, v3, v103
	;; [unrolled: 1-line block ×3, first 2 shown]
	v_fma_f32 v102, v0, v106, -v87
	v_mul_f32_e32 v87, v1, v107
	v_fmac_f32_e32 v101, v2, v103
	v_fma_f32 v103, v2, v104, -v85
	v_mul_f32_e32 v85, v3, v113
	v_mul_f32_e32 v179, v1, v166
	;; [unrolled: 1-line block ×4, first 2 shown]
	v_fma_f32 v104, v0, v108, -v87
	v_fmac_f32_e32 v178, v2, v113
	v_mul_f32_e32 v87, v1, v165
	v_fma_f32 v108, v2, v114, -v85
	v_mul_f32_e32 v113, v3, v116
	v_fmac_f32_e32 v179, v0, v165
	v_mul_f32_e32 v85, v3, v115
	v_mul_f32_e32 v165, v1, v168
	;; [unrolled: 1-line block ×3, first 2 shown]
	v_fmac_f32_e32 v175, v0, v89
	v_fmac_f32_e32 v169, v0, v91
	;; [unrolled: 1-line block ×4, first 2 shown]
	v_fma_f32 v114, v0, v166, -v87
	v_fmac_f32_e32 v113, v2, v115
	v_fma_f32 v115, v2, v116, -v85
	v_mul_f32_e32 v116, v3, v118
	v_fmac_f32_e32 v165, v0, v167
	v_mul_f32_e32 v3, v3, v117
	v_fma_f32 v166, v0, v168, -v1
	v_add_f32_e32 v0, v119, v170
	v_add_f32_e32 v1, v93, v119
	v_sub_f32_e32 v85, v83, v84
	v_fma_f32 v118, v2, v118, -v3
	v_add_f32_e32 v3, v83, v84
	v_fma_f32 v0, -0.5, v0, v93
	v_fmac_f32_e32 v116, v2, v117
	v_add_f32_e32 v2, v1, v170
	v_add_f32_e32 v87, v94, v83
	v_fma_f32 v1, -0.5, v3, v94
	v_sub_f32_e32 v89, v119, v170
	v_fmamk_f32 v83, v85, 0xbf5db3d7, v0
	v_fmac_f32_e32 v0, 0x3f5db3d7, v85
	v_add_f32_e32 v85, v175, v177
	v_add_f32_e32 v3, v87, v84
	v_fmamk_f32 v84, v89, 0x3f5db3d7, v1
	v_add_f32_e32 v87, v95, v175
	v_fmac_f32_e32 v1, 0xbf5db3d7, v89
	v_add_f32_e32 v89, v86, v88
	v_fma_f32 v95, -0.5, v85, v95
	v_sub_f32_e32 v91, v86, v88
	v_add_f32_e32 v85, v87, v177
	v_add_f32_e32 v86, v96, v86
	v_fmac_f32_e32 v96, -0.5, v89
	v_sub_f32_e32 v89, v175, v177
	v_fmamk_f32 v87, v91, 0xbf5db3d7, v95
	v_fmac_f32_e32 v95, 0x3f5db3d7, v91
	v_add_f32_e32 v91, v169, v174
	v_add_f32_e32 v94, v90, v92
	;; [unrolled: 1-line block ×3, first 2 shown]
	v_fmamk_f32 v88, v89, 0x3f5db3d7, v96
	v_add_f32_e32 v93, v97, v169
	v_fmac_f32_e32 v96, 0xbf5db3d7, v89
	v_fma_f32 v89, -0.5, v91, v97
	v_sub_f32_e32 v97, v90, v92
	v_add_f32_e32 v105, v98, v90
	v_fma_f32 v90, -0.5, v94, v98
	v_sub_f32_e32 v98, v169, v174
	v_add_f32_e32 v91, v93, v174
	v_fmamk_f32 v93, v97, 0xbf5db3d7, v89
	v_fmac_f32_e32 v89, 0x3f5db3d7, v97
	v_add_f32_e32 v97, v176, v101
	v_fmamk_f32 v94, v98, 0x3f5db3d7, v90
	v_fmac_f32_e32 v90, 0xbf5db3d7, v98
	v_add_f32_e32 v98, v102, v103
	v_sub_f32_e32 v107, v102, v103
	v_add_f32_e32 v102, v100, v102
	v_add_f32_e32 v92, v105, v92
	;; [unrolled: 1-line block ×3, first 2 shown]
	v_fma_f32 v99, -0.5, v97, v99
	v_fmac_f32_e32 v100, -0.5, v98
	v_add_f32_e32 v98, v102, v103
	v_add_f32_e32 v103, v106, v178
	;; [unrolled: 1-line block ×4, first 2 shown]
	v_sub_f32_e32 v105, v176, v101
	v_fmamk_f32 v101, v107, 0xbf5db3d7, v99
	v_fmac_f32_e32 v99, 0x3f5db3d7, v107
	v_add_f32_e32 v107, v109, v106
	v_fma_f32 v103, -0.5, v103, v109
	v_sub_f32_e32 v109, v104, v108
	v_add_f32_e32 v119, v110, v104
	v_fma_f32 v104, -0.5, v117, v110
	v_sub_f32_e32 v110, v106, v178
	v_fmamk_f32 v102, v105, 0x3f5db3d7, v100
	v_fmac_f32_e32 v100, 0xbf5db3d7, v105
	v_add_f32_e32 v105, v107, v178
	v_fmamk_f32 v107, v109, 0xbf5db3d7, v103
	v_fmac_f32_e32 v103, 0x3f5db3d7, v109
	v_add_f32_e32 v106, v119, v108
	v_add_f32_e32 v109, v179, v113
	v_fmamk_f32 v108, v110, 0x3f5db3d7, v104
	v_add_f32_e32 v117, v111, v179
	v_fmac_f32_e32 v104, 0xbf5db3d7, v110
	v_add_f32_e32 v110, v114, v115
	v_fma_f32 v111, -0.5, v109, v111
	v_sub_f32_e32 v119, v114, v115
	v_add_f32_e32 v109, v117, v113
	v_add_f32_e32 v114, v112, v114
	v_fmac_f32_e32 v112, -0.5, v110
	v_sub_f32_e32 v117, v179, v113
	v_fmamk_f32 v113, v119, 0xbf5db3d7, v111
	v_fmac_f32_e32 v111, 0x3f5db3d7, v119
	v_add_f32_e32 v110, v114, v115
	v_add_f32_e32 v115, v165, v116
	v_fmamk_f32 v114, v117, 0x3f5db3d7, v112
	v_fmac_f32_e32 v112, 0xbf5db3d7, v117
	v_add_f32_e32 v117, v166, v118
	v_add_f32_e32 v119, v81, v165
	v_fma_f32 v81, -0.5, v115, v81
	v_sub_f32_e32 v167, v166, v118
	v_add_f32_e32 v166, v82, v166
	v_fmac_f32_e32 v82, -0.5, v117
	v_sub_f32_e32 v165, v165, v116
	v_add_f32_e32 v115, v119, v116
	v_fmamk_f32 v117, v167, 0xbf5db3d7, v81
	v_fmac_f32_e32 v81, 0x3f5db3d7, v167
	v_add_f32_e32 v116, v166, v118
	v_fmamk_f32 v118, v165, 0x3f5db3d7, v82
	v_fmac_f32_e32 v82, 0xbf5db3d7, v165
	ds_write2_b64 v207, v[2:3], v[83:84] offset1:8
	ds_write_b64 v207, v[0:1] offset:128
	ds_write2_b64 v208, v[85:86], v[87:88] offset1:8
	ds_write_b64 v208, v[95:96] offset:128
	;; [unrolled: 2-line block ×7, first 2 shown]
	s_waitcnt lgkmcnt(0)
	s_barrier
	buffer_gl0_inv
	ds_read2_b64 v[0:3], v171 offset0:112 offset1:168
	ds_read2_b64 v[81:84], v76 offset0:80 offset1:136
	;; [unrolled: 1-line block ×4, first 2 shown]
	ds_read2_b64 v[93:96], v171 offset1:56
	ds_read2_b64 v[97:100], v77 offset0:16 offset1:72
	ds_read2_b64 v[101:104], v80 offset0:112 offset1:168
	;; [unrolled: 1-line block ×5, first 2 shown]
	ds_read_b64 v[117:118], v171 offset:8960
	s_waitcnt lgkmcnt(0)
	s_barrier
	buffer_gl0_inv
	v_mul_f32_e32 v119, v25, v3
	v_mul_f32_e32 v165, v21, v88
	;; [unrolled: 1-line block ×3, first 2 shown]
	v_fmac_f32_e32 v119, v24, v2
	v_mul_f32_e32 v2, v25, v2
	v_fmac_f32_e32 v165, v20, v87
	v_fma_f32 v20, v20, v88, -v21
	v_mul_f32_e32 v21, v23, v90
	v_mul_f32_e32 v23, v23, v89
	;; [unrolled: 1-line block ×4, first 2 shown]
	v_fma_f32 v2, v24, v3, -v2
	v_fmac_f32_e32 v21, v22, v89
	v_fma_f32 v22, v22, v90, -v23
	v_mul_f32_e32 v23, v15, v84
	v_fmac_f32_e32 v25, v26, v81
	v_fma_f32 v3, v26, v82, -v27
	v_mul_f32_e32 v24, v17, v100
	v_mul_f32_e32 v17, v17, v99
	;; [unrolled: 1-line block ×3, first 2 shown]
	v_fmac_f32_e32 v23, v14, v83
	v_mul_f32_e32 v81, v9, v110
	v_mul_f32_e32 v9, v9, v109
	;; [unrolled: 1-line block ×6, first 2 shown]
	v_fmac_f32_e32 v24, v16, v99
	v_fma_f32 v16, v16, v100, -v17
	v_mul_f32_e32 v17, v19, v101
	v_fma_f32 v27, v14, v84, -v15
	v_mul_f32_e32 v11, v11, v91
	v_fmac_f32_e32 v81, v8, v109
	v_fma_f32 v84, v8, v110, -v9
	v_fmac_f32_e32 v82, v10, v91
	v_fmac_f32_e32 v83, v4, v113
	v_mul_f32_e32 v89, v33, v108
	v_mul_f32_e32 v8, v33, v107
	v_fma_f32 v33, v4, v114, -v5
	v_mul_f32_e32 v91, v35, v86
	v_mul_f32_e32 v4, v35, v85
	;; [unrolled: 1-line block ×3, first 2 shown]
	v_fmac_f32_e32 v26, v18, v101
	v_fma_f32 v17, v18, v102, -v17
	v_fma_f32 v87, v10, v92, -v11
	v_mul_f32_e32 v88, v7, v104
	v_mul_f32_e32 v7, v7, v103
	;; [unrolled: 1-line block ×3, first 2 shown]
	v_fmac_f32_e32 v91, v34, v85
	v_fma_f32 v34, v34, v86, -v4
	v_fma_f32 v85, v28, v112, -v5
	v_mul_f32_e32 v4, v31, v97
	v_mul_f32_e32 v31, v37, v116
	;; [unrolled: 1-line block ×5, first 2 shown]
	v_fmac_f32_e32 v88, v6, v103
	v_fma_f32 v90, v6, v104, -v7
	v_fmac_f32_e32 v89, v32, v107
	v_fma_f32 v32, v32, v108, -v8
	v_fmac_f32_e32 v92, v30, v97
	v_mul_f32_e32 v37, v39, v118
	v_mul_f32_e32 v6, v39, v117
	v_fma_f32 v30, v30, v98, -v4
	v_fmac_f32_e32 v31, v36, v115
	v_fma_f32 v36, v36, v116, -v5
	v_add_f32_e32 v4, v119, v26
	v_add_f32_e32 v5, v2, v17
	;; [unrolled: 1-line block ×4, first 2 shown]
	v_fmac_f32_e32 v19, v12, v105
	v_fma_f32 v18, v12, v106, -v13
	v_fmac_f32_e32 v37, v38, v117
	v_fma_f32 v38, v38, v118, -v6
	v_sub_f32_e32 v6, v119, v26
	v_sub_f32_e32 v2, v2, v17
	;; [unrolled: 1-line block ×4, first 2 shown]
	v_add_f32_e32 v10, v165, v21
	v_add_f32_e32 v11, v20, v22
	v_sub_f32_e32 v12, v21, v165
	v_sub_f32_e32 v13, v22, v20
	v_add_f32_e32 v14, v7, v4
	v_add_f32_e32 v15, v8, v5
	v_sub_f32_e32 v16, v7, v4
	v_sub_f32_e32 v17, v8, v5
	;; [unrolled: 1-line block ×6, first 2 shown]
	v_add_f32_e32 v20, v12, v9
	v_add_f32_e32 v21, v13, v3
	v_sub_f32_e32 v22, v12, v9
	v_sub_f32_e32 v24, v13, v3
	;; [unrolled: 1-line block ×3, first 2 shown]
	v_add_f32_e32 v10, v10, v14
	v_add_f32_e32 v11, v11, v15
	v_sub_f32_e32 v14, v3, v2
	v_sub_f32_e32 v12, v6, v12
	;; [unrolled: 1-line block ×3, first 2 shown]
	v_add_f32_e32 v6, v20, v6
	v_add_f32_e32 v15, v21, v2
	;; [unrolled: 1-line block ×4, first 2 shown]
	v_mul_f32_e32 v4, 0x3f4a47b2, v4
	v_mul_f32_e32 v5, 0x3f4a47b2, v5
	;; [unrolled: 1-line block ×8, first 2 shown]
	v_fmamk_f32 v10, v10, 0xbf955555, v2
	v_fmamk_f32 v11, v11, 0xbf955555, v3
	v_fmamk_f32 v7, v7, 0x3d64c772, v4
	v_fmamk_f32 v8, v8, 0x3d64c772, v5
	v_fma_f32 v20, 0x3f3bfb3b, v16, -v20
	v_fma_f32 v21, 0x3f3bfb3b, v17, -v21
	;; [unrolled: 1-line block ×4, first 2 shown]
	v_fmamk_f32 v16, v12, 0xbeae86e6, v22
	v_fmamk_f32 v17, v13, 0xbeae86e6, v24
	v_fma_f32 v22, 0xbf5ff5aa, v9, -v22
	v_fma_f32 v14, 0xbf5ff5aa, v14, -v24
	v_fma_f32 v24, 0x3eae86e6, v12, -v25
	v_fma_f32 v12, 0x3eae86e6, v13, -v26
	v_mul_f32_e32 v35, v29, v112
	v_add_f32_e32 v25, v7, v10
	v_add_f32_e32 v26, v8, v11
	;; [unrolled: 1-line block ×5, first 2 shown]
	v_fmac_f32_e32 v16, 0xbee1c552, v6
	v_fmac_f32_e32 v17, 0xbee1c552, v15
	;; [unrolled: 1-line block ×6, first 2 shown]
	v_add_f32_e32 v28, v5, v11
	v_fmac_f32_e32 v24, 0xbee1c552, v6
	v_add_f32_e32 v4, v17, v25
	v_sub_f32_e32 v5, v26, v16
	v_add_f32_e32 v6, v12, v21
	v_sub_f32_e32 v8, v13, v14
	v_add_f32_e32 v9, v22, v20
	v_add_f32_e32 v10, v14, v13
	v_sub_f32_e32 v11, v20, v22
	v_sub_f32_e32 v12, v21, v12
	;; [unrolled: 1-line block ×3, first 2 shown]
	v_add_f32_e32 v15, v16, v26
	v_add_f32_e32 v16, v19, v88
	;; [unrolled: 1-line block ×5, first 2 shown]
	v_sub_f32_e32 v7, v28, v24
	v_add_f32_e32 v13, v24, v28
	v_sub_f32_e32 v19, v19, v88
	v_sub_f32_e32 v18, v18, v90
	;; [unrolled: 1-line block ×4, first 2 shown]
	v_add_f32_e32 v24, v81, v82
	v_add_f32_e32 v25, v84, v87
	v_sub_f32_e32 v26, v82, v81
	v_sub_f32_e32 v27, v87, v84
	v_add_f32_e32 v28, v20, v16
	v_add_f32_e32 v29, v21, v17
	v_sub_f32_e32 v33, v20, v16
	v_sub_f32_e32 v39, v21, v17
	;; [unrolled: 1-line block ×6, first 2 shown]
	v_add_f32_e32 v16, v26, v22
	v_add_f32_e32 v17, v27, v23
	v_sub_f32_e32 v83, v26, v22
	v_sub_f32_e32 v84, v27, v23
	;; [unrolled: 1-line block ×3, first 2 shown]
	v_add_f32_e32 v24, v24, v28
	v_add_f32_e32 v25, v25, v29
	v_sub_f32_e32 v23, v23, v18
	v_sub_f32_e32 v26, v19, v26
	;; [unrolled: 1-line block ×3, first 2 shown]
	v_add_f32_e32 v19, v16, v19
	v_add_f32_e32 v18, v17, v18
	;; [unrolled: 1-line block ×4, first 2 shown]
	v_mul_f32_e32 v28, 0x3f4a47b2, v81
	v_mul_f32_e32 v29, 0x3f4a47b2, v82
	;; [unrolled: 1-line block ×8, first 2 shown]
	v_fmamk_f32 v24, v24, 0xbf955555, v16
	v_fmamk_f32 v25, v25, 0xbf955555, v17
	;; [unrolled: 1-line block ×4, first 2 shown]
	v_fma_f32 v81, 0x3f3bfb3b, v33, -v81
	v_fma_f32 v82, 0x3f3bfb3b, v39, -v82
	;; [unrolled: 1-line block ×4, first 2 shown]
	v_fmamk_f32 v33, v26, 0xbeae86e6, v83
	v_fmamk_f32 v39, v27, 0xbeae86e6, v84
	v_fma_f32 v83, 0xbf5ff5aa, v22, -v83
	v_fma_f32 v84, 0xbf5ff5aa, v23, -v84
	;; [unrolled: 1-line block ×4, first 2 shown]
	v_add_f32_e32 v87, v20, v24
	v_add_f32_e32 v88, v21, v25
	;; [unrolled: 1-line block ×6, first 2 shown]
	v_fmac_f32_e32 v33, 0xbee1c552, v19
	v_fmac_f32_e32 v39, 0xbee1c552, v18
	;; [unrolled: 1-line block ×6, first 2 shown]
	v_add_f32_e32 v18, v39, v87
	v_sub_f32_e32 v19, v88, v33
	v_add_f32_e32 v20, v26, v28
	v_sub_f32_e32 v21, v29, v86
	v_sub_f32_e32 v22, v27, v84
	v_add_f32_e32 v23, v83, v81
	v_add_f32_e32 v24, v84, v27
	v_sub_f32_e32 v25, v81, v83
	v_sub_f32_e32 v26, v28, v26
	v_add_f32_e32 v27, v86, v29
	v_sub_f32_e32 v28, v87, v39
	v_add_f32_e32 v29, v33, v88
	v_add_f32_e32 v33, v89, v37
	;; [unrolled: 1-line block ×3, first 2 shown]
	v_sub_f32_e32 v32, v32, v38
	v_add_f32_e32 v38, v91, v31
	v_add_f32_e32 v81, v34, v36
	v_sub_f32_e32 v37, v89, v37
	v_sub_f32_e32 v31, v91, v31
	;; [unrolled: 1-line block ×3, first 2 shown]
	v_add_f32_e32 v36, v35, v92
	v_add_f32_e32 v82, v85, v30
	v_sub_f32_e32 v35, v92, v35
	v_sub_f32_e32 v30, v30, v85
	v_add_f32_e32 v83, v38, v33
	v_add_f32_e32 v84, v81, v39
	v_sub_f32_e32 v85, v38, v33
	v_sub_f32_e32 v86, v81, v39
	;; [unrolled: 1-line block ×6, first 2 shown]
	v_add_f32_e32 v87, v35, v31
	v_add_f32_e32 v88, v30, v34
	v_sub_f32_e32 v89, v35, v31
	v_sub_f32_e32 v90, v30, v34
	;; [unrolled: 1-line block ×3, first 2 shown]
	v_add_f32_e32 v36, v36, v83
	v_add_f32_e32 v82, v82, v84
	v_sub_f32_e32 v34, v34, v32
	v_sub_f32_e32 v35, v37, v35
	;; [unrolled: 1-line block ×3, first 2 shown]
	v_add_f32_e32 v37, v87, v37
	v_add_f32_e32 v32, v88, v32
	;; [unrolled: 1-line block ×4, first 2 shown]
	v_mul_f32_e32 v33, 0x3f4a47b2, v33
	v_mul_f32_e32 v39, 0x3f4a47b2, v39
	;; [unrolled: 1-line block ×8, first 2 shown]
	v_fmamk_f32 v36, v36, 0xbf955555, v0
	v_fmamk_f32 v82, v82, 0xbf955555, v1
	;; [unrolled: 1-line block ×4, first 2 shown]
	v_fma_f32 v83, 0x3f3bfb3b, v85, -v83
	v_fma_f32 v84, 0x3f3bfb3b, v86, -v84
	;; [unrolled: 1-line block ×4, first 2 shown]
	v_fmamk_f32 v85, v35, 0xbeae86e6, v87
	v_fmamk_f32 v86, v30, 0xbeae86e6, v88
	v_fma_f32 v87, 0xbf5ff5aa, v31, -v87
	v_fma_f32 v88, 0xbf5ff5aa, v34, -v88
	v_fma_f32 v89, 0x3eae86e6, v35, -v89
	v_fma_f32 v90, 0x3eae86e6, v30, -v90
	v_add_f32_e32 v91, v38, v36
	v_add_f32_e32 v92, v81, v82
	;; [unrolled: 1-line block ×6, first 2 shown]
	v_fmac_f32_e32 v85, 0xbee1c552, v37
	v_fmac_f32_e32 v86, 0xbee1c552, v32
	;; [unrolled: 1-line block ×6, first 2 shown]
	v_add_f32_e32 v30, v86, v91
	v_sub_f32_e32 v31, v92, v85
	v_add_f32_e32 v32, v90, v83
	v_sub_f32_e32 v33, v39, v89
	v_sub_f32_e32 v34, v38, v88
	v_add_f32_e32 v35, v87, v81
	v_add_f32_e32 v36, v88, v38
	v_sub_f32_e32 v37, v81, v87
	v_sub_f32_e32 v38, v83, v90
	v_add_f32_e32 v39, v89, v39
	v_sub_f32_e32 v81, v91, v86
	v_add_f32_e32 v82, v85, v92
	ds_write2_b64 v214, v[2:3], v[4:5] offset1:24
	ds_write2_b64 v214, v[6:7], v[8:9] offset0:48 offset1:72
	ds_write2_b64 v214, v[10:11], v[12:13] offset0:96 offset1:120
	ds_write_b64 v214, v[14:15] offset:1152
	ds_write2_b64 v215, v[16:17], v[18:19] offset1:24
	ds_write2_b64 v215, v[20:21], v[22:23] offset0:48 offset1:72
	ds_write2_b64 v215, v[24:25], v[26:27] offset0:96 offset1:120
	ds_write_b64 v215, v[28:29] offset:1152
	;; [unrolled: 4-line block ×3, first 2 shown]
	s_waitcnt lgkmcnt(0)
	s_barrier
	buffer_gl0_inv
	ds_read2_b64 v[0:3], v171 offset0:112 offset1:168
	ds_read2_b64 v[4:7], v76 offset0:80 offset1:136
	;; [unrolled: 1-line block ×4, first 2 shown]
	ds_read2_b64 v[16:19], v171 offset1:56
	ds_read2_b64 v[20:23], v77 offset0:16 offset1:72
	ds_read2_b64 v[24:27], v80 offset0:112 offset1:168
	ds_read2_b64 v[28:31], v78 offset0:96 offset1:152
	ds_read2_b64 v[32:35], v79 offset0:48 offset1:104
	ds_read2_b64 v[36:39], v77 offset0:128 offset1:184
	ds_read_b64 v[80:81], v171 offset:8960
	s_waitcnt lgkmcnt(10)
	v_mul_f32_e32 v82, v41, v3
	s_waitcnt lgkmcnt(8)
	v_mul_f32_e32 v83, v45, v11
	v_mul_f32_e32 v45, v45, v10
	v_fmac_f32_e32 v82, v40, v2
	v_mul_f32_e32 v2, v41, v2
	v_mul_f32_e32 v41, v43, v5
	;; [unrolled: 1-line block ×3, first 2 shown]
	v_fmac_f32_e32 v83, v44, v10
	s_waitcnt lgkmcnt(7)
	v_mul_f32_e32 v10, v47, v12
	v_fma_f32 v2, v40, v3, -v2
	v_fmac_f32_e32 v41, v42, v4
	v_fma_f32 v3, v42, v5, -v43
	v_fma_f32 v4, v44, v11, -v45
	v_mul_f32_e32 v5, v47, v13
	s_waitcnt lgkmcnt(5)
	v_mul_f32_e32 v11, v65, v23
	v_mul_f32_e32 v40, v65, v22
	s_waitcnt lgkmcnt(4)
	v_mul_f32_e32 v42, v67, v25
	v_fma_f32 v10, v46, v13, -v10
	v_fmac_f32_e32 v5, v46, v12
	v_fmac_f32_e32 v11, v64, v22
	v_fma_f32 v12, v64, v23, -v40
	v_fmac_f32_e32 v42, v66, v24
	v_mul_f32_e32 v13, v67, v24
	s_waitcnt lgkmcnt(3)
	v_mul_f32_e32 v22, v53, v29
	v_mul_f32_e32 v24, v55, v7
	;; [unrolled: 1-line block ×4, first 2 shown]
	v_fma_f32 v13, v66, v25, -v13
	v_fmac_f32_e32 v22, v52, v28
	v_fmac_f32_e32 v24, v54, v6
	v_fma_f32 v25, v54, v7, -v40
	s_waitcnt lgkmcnt(2)
	v_mul_f32_e32 v28, v57, v33
	v_mul_f32_e32 v6, v57, v32
	;; [unrolled: 1-line block ×3, first 2 shown]
	s_waitcnt lgkmcnt(1)
	v_mul_f32_e32 v40, v49, v37
	v_fma_f32 v23, v52, v29, -v23
	v_fmac_f32_e32 v28, v56, v32
	v_fma_f32 v32, v56, v33, -v6
	v_fma_f32 v33, v58, v15, -v7
	v_fmac_f32_e32 v40, v48, v36
	v_mul_f32_e32 v6, v49, v36
	v_mul_f32_e32 v36, v51, v27
	;; [unrolled: 1-line block ×5, first 2 shown]
	v_fma_f32 v37, v48, v37, -v6
	v_fmac_f32_e32 v36, v50, v26
	v_fma_f32 v26, v50, v27, -v7
	v_mul_f32_e32 v6, v63, v8
	v_mul_f32_e32 v7, v73, v34
	v_fmac_f32_e32 v29, v58, v14
	v_mul_f32_e32 v43, v61, v31
	v_mul_f32_e32 v14, v61, v30
	v_fma_f32 v46, v62, v9, -v6
	v_fmac_f32_e32 v44, v72, v34
	v_fma_f32 v34, v72, v35, -v7
	v_mul_f32_e32 v6, v75, v20
	v_mul_f32_e32 v35, v69, v39
	;; [unrolled: 1-line block ×3, first 2 shown]
	v_fmac_f32_e32 v43, v60, v30
	v_fma_f32 v30, v60, v31, -v14
	v_mul_f32_e32 v31, v63, v9
	v_fma_f32 v48, v74, v21, -v6
	v_fmac_f32_e32 v35, v68, v38
	v_fma_f32 v38, v68, v39, -v7
	v_add_f32_e32 v6, v82, v42
	v_add_f32_e32 v7, v2, v13
	v_sub_f32_e32 v2, v2, v13
	v_add_f32_e32 v9, v41, v11
	v_add_f32_e32 v13, v3, v12
	v_mul_f32_e32 v45, v75, v21
	v_fmac_f32_e32 v31, v62, v8
	s_waitcnt lgkmcnt(0)
	v_mul_f32_e32 v8, v71, v80
	v_sub_f32_e32 v11, v41, v11
	v_sub_f32_e32 v3, v3, v12
	v_add_f32_e32 v12, v83, v5
	v_add_f32_e32 v14, v4, v10
	v_sub_f32_e32 v5, v5, v83
	v_sub_f32_e32 v4, v10, v4
	v_add_f32_e32 v10, v9, v6
	v_add_f32_e32 v15, v13, v7
	v_fmac_f32_e32 v45, v74, v20
	v_fma_f32 v39, v70, v81, -v8
	v_sub_f32_e32 v8, v82, v42
	v_sub_f32_e32 v20, v9, v6
	;; [unrolled: 1-line block ×7, first 2 shown]
	v_add_f32_e32 v27, v5, v11
	v_add_f32_e32 v41, v4, v3
	v_sub_f32_e32 v42, v5, v11
	v_sub_f32_e32 v49, v4, v3
	v_add_f32_e32 v10, v12, v10
	v_add_f32_e32 v12, v14, v15
	v_sub_f32_e32 v14, v3, v2
	v_sub_f32_e32 v5, v8, v5
	;; [unrolled: 1-line block ×4, first 2 shown]
	v_add_f32_e32 v8, v27, v8
	v_add_f32_e32 v15, v41, v2
	;; [unrolled: 1-line block ×4, first 2 shown]
	v_mul_f32_e32 v6, 0x3f4a47b2, v6
	v_mul_f32_e32 v7, 0x3f4a47b2, v7
	;; [unrolled: 1-line block ×8, first 2 shown]
	v_fmamk_f32 v10, v10, 0xbf955555, v2
	v_fmamk_f32 v12, v12, 0xbf955555, v3
	;; [unrolled: 1-line block ×4, first 2 shown]
	v_fma_f32 v16, 0x3f3bfb3b, v20, -v16
	v_fma_f32 v17, 0x3f3bfb3b, v21, -v17
	v_fma_f32 v6, 0xbf3bfb3b, v20, -v6
	v_fma_f32 v7, 0xbf3bfb3b, v21, -v7
	v_fmamk_f32 v20, v5, 0xbeae86e6, v27
	v_fmamk_f32 v21, v4, 0xbeae86e6, v41
	v_fma_f32 v11, 0xbf5ff5aa, v11, -v27
	v_fma_f32 v14, 0xbf5ff5aa, v14, -v41
	;; [unrolled: 1-line block ×4, first 2 shown]
	v_add_f32_e32 v42, v9, v10
	v_add_f32_e32 v49, v13, v12
	v_add_f32_e32 v13, v16, v10
	v_add_f32_e32 v16, v17, v12
	v_add_f32_e32 v17, v6, v10
	v_fmac_f32_e32 v20, 0xbee1c552, v8
	v_fmac_f32_e32 v21, 0xbee1c552, v15
	;; [unrolled: 1-line block ×5, first 2 shown]
	v_add_f32_e32 v50, v7, v12
	v_fmac_f32_e32 v27, 0xbee1c552, v8
	v_add_f32_e32 v4, v21, v42
	v_sub_f32_e32 v5, v49, v20
	v_add_f32_e32 v6, v41, v17
	v_sub_f32_e32 v8, v13, v14
	v_add_f32_e32 v9, v11, v16
	v_add_f32_e32 v10, v14, v13
	v_sub_f32_e32 v11, v16, v11
	v_sub_f32_e32 v12, v17, v41
	;; [unrolled: 1-line block ×3, first 2 shown]
	v_add_f32_e32 v15, v20, v49
	v_add_f32_e32 v16, v22, v36
	;; [unrolled: 1-line block ×3, first 2 shown]
	v_sub_f32_e32 v20, v22, v36
	v_sub_f32_e32 v21, v23, v26
	v_add_f32_e32 v22, v24, v40
	v_add_f32_e32 v23, v25, v37
	v_sub_f32_e32 v7, v50, v27
	v_add_f32_e32 v13, v27, v50
	v_sub_f32_e32 v24, v24, v40
	v_sub_f32_e32 v25, v25, v37
	v_add_f32_e32 v26, v28, v29
	v_add_f32_e32 v27, v32, v33
	v_sub_f32_e32 v28, v29, v28
	v_sub_f32_e32 v29, v33, v32
	v_add_f32_e32 v32, v22, v16
	v_add_f32_e32 v33, v23, v17
	v_sub_f32_e32 v36, v22, v16
	v_sub_f32_e32 v37, v23, v17
	;; [unrolled: 1-line block ×6, first 2 shown]
	v_add_f32_e32 v16, v28, v24
	v_add_f32_e32 v17, v29, v25
	v_sub_f32_e32 v42, v28, v24
	v_sub_f32_e32 v49, v29, v25
	;; [unrolled: 1-line block ×3, first 2 shown]
	v_add_f32_e32 v26, v26, v32
	v_add_f32_e32 v27, v27, v33
	v_sub_f32_e32 v28, v20, v28
	v_sub_f32_e32 v29, v21, v29
	;; [unrolled: 1-line block ×3, first 2 shown]
	v_add_f32_e32 v20, v16, v20
	v_add_f32_e32 v21, v17, v21
	;; [unrolled: 1-line block ×4, first 2 shown]
	v_mul_f32_e32 v18, 0x3f4a47b2, v40
	v_mul_f32_e32 v19, 0x3f4a47b2, v41
	;; [unrolled: 1-line block ×9, first 2 shown]
	v_fmamk_f32 v26, v26, 0xbf955555, v16
	v_fmamk_f32 v27, v27, 0xbf955555, v17
	;; [unrolled: 1-line block ×4, first 2 shown]
	v_fma_f32 v32, 0x3f3bfb3b, v36, -v32
	v_fma_f32 v33, 0x3f3bfb3b, v37, -v33
	;; [unrolled: 1-line block ×4, first 2 shown]
	v_fmamk_f32 v36, v28, 0xbeae86e6, v40
	v_fmamk_f32 v37, v29, 0xbeae86e6, v41
	v_fma_f32 v40, 0xbf5ff5aa, v24, -v40
	v_fma_f32 v24, 0xbf5ff5aa, v25, -v41
	v_fma_f32 v28, 0x3eae86e6, v28, -v42
	v_fmac_f32_e32 v47, v70, v80
	v_fma_f32 v29, 0x3eae86e6, v29, -v49
	v_add_f32_e32 v41, v22, v26
	v_add_f32_e32 v42, v23, v27
	;; [unrolled: 1-line block ×5, first 2 shown]
	v_fmac_f32_e32 v37, 0xbee1c552, v21
	v_fmac_f32_e32 v40, 0xbee1c552, v20
	;; [unrolled: 1-line block ×4, first 2 shown]
	v_add_f32_e32 v26, v18, v26
	v_fmac_f32_e32 v36, 0xbee1c552, v20
	v_fmac_f32_e32 v29, 0xbee1c552, v21
	v_add_f32_e32 v18, v37, v41
	v_sub_f32_e32 v21, v27, v28
	v_sub_f32_e32 v22, v25, v24
	v_add_f32_e32 v23, v40, v32
	v_add_f32_e32 v24, v24, v25
	v_sub_f32_e32 v25, v32, v40
	v_add_f32_e32 v27, v28, v27
	v_sub_f32_e32 v28, v41, v37
	v_add_f32_e32 v32, v43, v47
	v_add_f32_e32 v33, v30, v39
	v_sub_f32_e32 v30, v30, v39
	v_add_f32_e32 v37, v31, v35
	;; [unrolled: 3-line block ×3, first 2 shown]
	v_sub_f32_e32 v26, v26, v29
	v_add_f32_e32 v29, v36, v42
	v_sub_f32_e32 v36, v43, v47
	v_sub_f32_e32 v31, v31, v35
	v_sub_f32_e32 v35, v46, v38
	v_add_f32_e32 v38, v44, v45
	v_add_f32_e32 v40, v34, v48
	v_sub_f32_e32 v41, v45, v44
	v_sub_f32_e32 v34, v48, v34
	v_add_f32_e32 v42, v37, v32
	v_add_f32_e32 v43, v39, v33
	v_sub_f32_e32 v44, v37, v32
	v_sub_f32_e32 v45, v39, v33
	;; [unrolled: 1-line block ×6, first 2 shown]
	v_add_f32_e32 v46, v41, v31
	v_add_f32_e32 v47, v34, v35
	v_sub_f32_e32 v48, v41, v31
	v_sub_f32_e32 v49, v34, v35
	;; [unrolled: 1-line block ×3, first 2 shown]
	v_add_f32_e32 v38, v38, v42
	v_add_f32_e32 v40, v40, v43
	v_sub_f32_e32 v35, v35, v30
	v_sub_f32_e32 v41, v36, v41
	;; [unrolled: 1-line block ×3, first 2 shown]
	v_add_f32_e32 v36, v46, v36
	v_add_f32_e32 v30, v47, v30
	;; [unrolled: 1-line block ×4, first 2 shown]
	v_mul_f32_e32 v32, 0x3f4a47b2, v32
	v_mul_f32_e32 v33, 0x3f4a47b2, v33
	;; [unrolled: 1-line block ×8, first 2 shown]
	v_fmamk_f32 v38, v38, 0xbf955555, v0
	v_fmamk_f32 v40, v40, 0xbf955555, v1
	v_fmamk_f32 v37, v37, 0x3d64c772, v32
	v_fmamk_f32 v39, v39, 0x3d64c772, v33
	v_fma_f32 v42, 0x3f3bfb3b, v44, -v42
	v_fma_f32 v43, 0x3f3bfb3b, v45, -v43
	;; [unrolled: 1-line block ×4, first 2 shown]
	v_fmamk_f32 v44, v41, 0xbeae86e6, v46
	v_fmamk_f32 v45, v34, 0xbeae86e6, v47
	v_fma_f32 v46, 0xbf5ff5aa, v31, -v46
	v_fma_f32 v47, 0xbf5ff5aa, v35, -v47
	v_fma_f32 v41, 0x3eae86e6, v41, -v48
	v_fma_f32 v48, 0x3eae86e6, v34, -v49
	v_add_f32_e32 v49, v37, v38
	v_add_f32_e32 v50, v39, v40
	;; [unrolled: 1-line block ×6, first 2 shown]
	v_fmac_f32_e32 v44, 0xbee1c552, v36
	v_fmac_f32_e32 v45, 0xbee1c552, v30
	;; [unrolled: 1-line block ×6, first 2 shown]
	v_add_f32_e32 v30, v45, v49
	v_sub_f32_e32 v31, v50, v44
	v_add_f32_e32 v32, v48, v38
	v_sub_f32_e32 v33, v40, v41
	v_sub_f32_e32 v34, v37, v47
	v_add_f32_e32 v35, v46, v39
	v_add_f32_e32 v36, v47, v37
	v_sub_f32_e32 v37, v39, v46
	v_sub_f32_e32 v38, v38, v48
	v_add_f32_e32 v39, v41, v40
	v_sub_f32_e32 v40, v49, v45
	v_add_f32_e32 v41, v44, v50
	ds_write_b64 v171, v[4:5] offset:1344
	ds_write_b64 v171, v[6:7] offset:2688
	;; [unrolled: 1-line block ×6, first 2 shown]
	ds_write2_b64 v171, v[2:3], v[16:17] offset1:56
	ds_write_b64 v171, v[20:21] offset:3136
	ds_write_b64 v171, v[22:23] offset:4480
	;; [unrolled: 1-line block ×6, first 2 shown]
	ds_write2_b64 v78, v[18:19], v[30:31] offset0:96 offset1:152
	ds_write_b64 v171, v[32:33] offset:3584
	ds_write_b64 v171, v[34:35] offset:4928
	;; [unrolled: 1-line block ×5, first 2 shown]
	s_waitcnt lgkmcnt(0)
	s_barrier
	buffer_gl0_inv
	ds_read2_b64 v[0:3], v171 offset1:56
	v_mad_u64_u32 v[12:13], null, s10, v136, 0
	v_mad_u64_u32 v[16:17], null, s8, v173, 0
	;; [unrolled: 1-line block ×3, first 2 shown]
	v_mov_b32_e32 v10, v13
	v_mad_u64_u32 v[10:11], null, s11, v136, v[10:11]
	s_waitcnt lgkmcnt(0)
	v_mul_f32_e32 v5, v162, v0
	v_mul_f32_e32 v4, v162, v1
	v_mov_b32_e32 v13, v10
	v_mul_f32_e32 v24, v158, v3
	v_fma_f32 v5, v161, v1, -v5
	v_fmac_f32_e32 v4, v161, v0
	v_lshlrev_b64 v[12:13], 3, v[12:13]
	v_fmac_f32_e32 v24, v157, v2
	v_mul_f32_e32 v2, v158, v2
	v_cvt_f64_f32_e32 v[8:9], v5
	v_cvt_f64_f32_e32 v[0:1], v4
	ds_read2_b64 v[4:7], v79 offset0:76 offset1:132
	v_fma_f32 v2, v157, v3, -v2
	v_mul_f64 v[14:15], v[8:9], s[2:3]
	s_waitcnt lgkmcnt(0)
	v_mul_f32_e32 v8, v164, v5
	v_mul_f32_e32 v9, v164, v4
	v_mul_f64 v[0:1], v[0:1], s[2:3]
	v_mul_f32_e32 v25, v160, v6
	v_fmac_f32_e32 v8, v163, v4
	v_fma_f32 v5, v163, v5, -v9
	v_mov_b32_e32 v4, v17
	v_fma_f32 v3, v159, v7, -v25
	v_cvt_f64_f32_e32 v[18:19], v8
	ds_read2_b64 v[8:11], v171 offset0:112 offset1:168
	v_cvt_f64_f32_e32 v[20:21], v5
	v_mad_u64_u32 v[4:5], null, s9, v173, v[4:5]
	v_mov_b32_e32 v17, v4
	v_cvt_f64_f32_e32 v[4:5], v24
	v_mul_f32_e32 v24, v160, v7
	v_cvt_f32_f64_e32 v22, v[0:1]
	v_add_co_u32 v0, s0, s6, v12
	v_add_co_ci_u32_e64 v1, s0, s7, v13, s0
	v_fmac_f32_e32 v24, v159, v6
	v_cvt_f64_f32_e32 v[6:7], v2
	s_waitcnt lgkmcnt(0)
	v_mul_f32_e32 v26, v154, v8
	v_mul_f32_e32 v25, v154, v9
	v_lshlrev_b64 v[12:13], 3, v[16:17]
	v_cvt_f32_f64_e32 v23, v[14:15]
	v_mul_f64 v[14:15], v[18:19], s[2:3]
	v_fma_f32 v26, v153, v9, -v26
	v_mul_f64 v[16:17], v[20:21], s[2:3]
	v_cvt_f64_f32_e32 v[18:19], v24
	v_cvt_f64_f32_e32 v[20:21], v3
	v_fmac_f32_e32 v25, v153, v8
	v_cvt_f64_f32_e32 v[26:27], v26
	v_add_co_u32 v8, s0, v0, v12
	v_add_co_ci_u32_e64 v9, s0, v1, v13, s0
	v_mul_f64 v[12:13], v[4:5], s[2:3]
	ds_read2_b64 v[2:5], v79 offset0:188 offset1:244
	v_cvt_f64_f32_e32 v[24:25], v25
	s_mul_i32 s0, s9, 0x24c
	v_mul_f32_e32 v34, v146, v11
	s_add_i32 s1, s1, s0
	v_mul_f64 v[6:7], v[6:7], s[2:3]
	s_mul_i32 s0, s8, 0x24c
	v_mul_f32_e32 v35, v146, v10
	s_lshl_b64 s[4:5], s[0:1], 3
	global_store_dwordx2 v[8:9], v[22:23], off
	v_cvt_f32_f64_e32 v22, v[14:15]
	v_fmac_f32_e32 v34, v145, v10
	v_cvt_f32_f64_e32 v23, v[16:17]
	v_mul_f64 v[18:19], v[18:19], s[2:3]
	v_mul_f64 v[20:21], v[20:21], s[2:3]
	v_add_co_u32 v16, s0, v8, s4
	v_mul_f64 v[26:27], v[26:27], s[2:3]
	v_add_co_ci_u32_e64 v17, s0, s5, v9, s0
	s_waitcnt lgkmcnt(0)
	v_mul_f32_e32 v8, v156, v3
	v_mul_f32_e32 v9, v156, v2
	v_cvt_f32_f64_e32 v28, v[12:13]
	v_mul_f64 v[24:25], v[24:25], s[2:3]
	v_mul_f32_e32 v36, v148, v5
	v_fmac_f32_e32 v8, v155, v2
	v_fma_f32 v9, v155, v3, -v9
	v_cvt_f32_f64_e32 v29, v[6:7]
	s_mul_hi_u32 s0, s8, 0xfffffdec
	v_fmac_f32_e32 v36, v147, v4
	v_cvt_f64_f32_e32 v[2:3], v8
	v_cvt_f64_f32_e32 v[30:31], v9
	ds_read2_b64 v[6:9], v78 offset0:96 offset1:152
	ds_read2_b64 v[12:15], v77 offset0:44 offset1:100
	s_mul_i32 s1, s9, 0xfffffdec
	s_sub_i32 s0, s0, s8
	v_cvt_f32_f64_e32 v18, v[18:19]
	v_cvt_f32_f64_e32 v19, v[20:21]
	s_add_i32 s1, s0, s1
	s_mul_i32 s0, s8, 0xfffffdec
	v_cvt_f32_f64_e32 v21, v[26:27]
	v_fma_f32 v26, v145, v11, -v35
	s_lshl_b64 s[6:7], s[0:1], 3
	v_mul_f32_e32 v4, v148, v4
	v_add_co_u32 v32, s0, v16, s6
	v_cvt_f32_f64_e32 v20, v[24:25]
	v_cvt_f64_f32_e32 v[24:25], v34
	v_cvt_f64_f32_e32 v[26:27], v26
	v_add_co_ci_u32_e64 v33, s0, s7, v17, s0
	v_fma_f32 v4, v147, v5, -v4
	s_waitcnt lgkmcnt(1)
	v_mul_f32_e32 v34, v142, v7
	v_mul_f64 v[2:3], v[2:3], s[2:3]
	v_mul_f64 v[10:11], v[30:31], s[2:3]
	v_cvt_f64_f32_e32 v[30:31], v36
	v_mul_f32_e32 v35, v142, v6
	s_waitcnt lgkmcnt(0)
	v_mul_f32_e32 v36, v152, v13
	v_mul_f32_e32 v37, v152, v12
	v_fmac_f32_e32 v34, v141, v6
	v_add_co_u32 v38, s0, v32, s4
	v_fma_f32 v35, v141, v7, -v35
	v_fmac_f32_e32 v36, v151, v12
	v_fma_f32 v37, v151, v13, -v37
	v_cvt_f64_f32_e32 v[6:7], v34
	v_add_co_ci_u32_e64 v39, s0, s5, v33, s0
	v_cvt_f64_f32_e32 v[12:13], v35
	v_cvt_f64_f32_e32 v[34:35], v36
	;; [unrolled: 1-line block ×3, first 2 shown]
	global_store_dwordx2 v[16:17], v[22:23], off
	v_mul_f64 v[22:23], v[24:25], s[2:3]
	v_mul_f64 v[24:25], v[26:27], s[2:3]
	v_add_co_u32 v16, s0, v38, s6
	v_add_co_ci_u32_e64 v17, s0, s7, v39, s0
	v_cvt_f64_f32_e32 v[36:37], v37
	global_store_dwordx2 v[32:33], v[28:29], off
	global_store_dwordx2 v[38:39], v[18:19], off
	;; [unrolled: 1-line block ×3, first 2 shown]
	v_cvt_f32_f64_e32 v18, v[2:3]
	v_mul_f32_e32 v2, v150, v9
	v_mul_f32_e32 v3, v150, v8
	v_cvt_f32_f64_e32 v19, v[10:11]
	v_mul_f64 v[10:11], v[30:31], s[2:3]
	v_add_co_u32 v16, s0, v16, s4
	v_fmac_f32_e32 v2, v149, v8
	v_mul_f64 v[26:27], v[6:7], s[2:3]
	v_add_co_ci_u32_e64 v17, s0, s5, v17, s0
	v_mul_f64 v[12:13], v[12:13], s[2:3]
	v_cvt_f64_f32_e32 v[32:33], v2
	v_fma_f32 v2, v149, v9, -v3
	v_mul_f64 v[28:29], v[34:35], s[2:3]
	v_mul_f64 v[20:21], v[4:5], s[2:3]
	v_cvt_f32_f64_e32 v22, v[22:23]
	v_cvt_f32_f64_e32 v23, v[24:25]
	v_cvt_f64_f32_e32 v[24:25], v2
	ds_read2_b64 v[2:5], v76 offset0:80 offset1:136
	v_mul_f64 v[30:31], v[36:37], s[2:3]
	v_mul_f32_e32 v36, v140, v15
	ds_read2_b64 v[6:9], v77 offset0:156 offset1:212
	v_add_co_u32 v34, s0, v16, s6
	v_add_co_ci_u32_e64 v35, s0, s7, v17, s0
	v_fmac_f32_e32 v36, v139, v14
	v_mul_f32_e32 v14, v140, v14
	v_cvt_f32_f64_e32 v10, v[10:11]
	v_cvt_f32_f64_e32 v26, v[26:27]
	;; [unrolled: 1-line block ×3, first 2 shown]
	v_fma_f32 v14, v139, v15, -v14
	v_cvt_f32_f64_e32 v12, v[28:29]
	v_mul_f64 v[28:29], v[32:33], s[2:3]
	v_cvt_f32_f64_e32 v11, v[20:21]
	s_waitcnt lgkmcnt(1)
	v_mul_f32_e32 v32, v144, v3
	v_mul_f32_e32 v33, v144, v2
	v_add_co_u32 v20, s0, v34, s4
	v_cvt_f32_f64_e32 v13, v[30:31]
	v_fmac_f32_e32 v32, v143, v2
	v_fma_f32 v33, v143, v3, -v33
	v_cvt_f64_f32_e32 v[2:3], v14
	v_cvt_f64_f32_e32 v[30:31], v36
	s_waitcnt lgkmcnt(0)
	v_mul_f32_e32 v36, v138, v7
	v_mul_f32_e32 v37, v138, v6
	v_add_co_ci_u32_e64 v21, s0, s5, v35, s0
	v_mul_f64 v[24:25], v[24:25], s[2:3]
	v_fmac_f32_e32 v36, v137, v6
	v_fma_f32 v38, v137, v7, -v37
	v_add_co_u32 v6, s0, v20, s6
	v_add_co_ci_u32_e64 v7, s0, s7, v21, s0
	v_cvt_f64_f32_e32 v[14:15], v32
	v_cvt_f64_f32_e32 v[32:33], v33
	;; [unrolled: 1-line block ×4, first 2 shown]
	v_add_co_u32 v40, s0, v6, s4
	v_add_co_ci_u32_e64 v41, s0, s5, v7, s0
	global_store_dwordx2 v[16:17], v[18:19], off
	global_store_dwordx2 v[34:35], v[22:23], off
	;; [unrolled: 1-line block ×5, first 2 shown]
	v_mul_f64 v[18:19], v[2:3], s[2:3]
	v_mul_f32_e32 v2, v135, v5
	v_mul_f32_e32 v3, v135, v4
	;; [unrolled: 1-line block ×3, first 2 shown]
	v_cvt_f32_f64_e32 v6, v[28:29]
	v_add_nc_u32_e32 v11, 0x2000, v171
	v_fmac_f32_e32 v2, v134, v4
	v_fma_f32 v3, v134, v5, -v3
	v_fmac_f32_e32 v10, v132, v8
	v_cvt_f32_f64_e32 v7, v[24:25]
	v_mul_f32_e32 v8, v133, v8
	v_cvt_f64_f32_e32 v[26:27], v2
	v_cvt_f64_f32_e32 v[28:29], v3
	ds_read2_b64 v[2:5], v76 offset0:192 offset1:248
	v_mul_f64 v[20:21], v[32:33], s[2:3]
	v_mul_f64 v[22:23], v[36:37], s[2:3]
	;; [unrolled: 1-line block ×3, first 2 shown]
	v_cvt_f64_f32_e32 v[32:33], v10
	ds_read2_b64 v[10:13], v11 offset0:12 offset1:68
	v_fma_f32 v8, v132, v9, -v8
	v_mul_f64 v[16:17], v[30:31], s[2:3]
	v_mul_f64 v[14:15], v[14:15], s[2:3]
	v_add_co_u32 v30, s0, v40, s6
	v_add_co_ci_u32_e64 v31, s0, s7, v41, s0
	s_waitcnt lgkmcnt(1)
	v_mul_f32_e32 v34, v125, v3
	v_mul_f32_e32 v35, v125, v2
	;; [unrolled: 1-line block ×3, first 2 shown]
	v_cvt_f32_f64_e32 v22, v[22:23]
	v_fmac_f32_e32 v34, v124, v2
	v_cvt_f32_f64_e32 v23, v[24:25]
	v_mul_f64 v[24:25], v[26:27], s[2:3]
	v_mul_f64 v[26:27], v[28:29], s[2:3]
	;; [unrolled: 1-line block ×3, first 2 shown]
	v_fma_f32 v32, v124, v3, -v35
	v_cvt_f64_f32_e32 v[2:3], v8
	v_cvt_f64_f32_e32 v[8:9], v34
	s_waitcnt lgkmcnt(0)
	v_mul_f32_e32 v36, v131, v11
	v_mul_f32_e32 v38, v129, v13
	;; [unrolled: 1-line block ×3, first 2 shown]
	v_fma_f32 v37, v126, v5, -v37
	v_cvt_f32_f64_e32 v16, v[16:17]
	v_fmac_f32_e32 v36, v130, v10
	v_mul_f32_e32 v10, v131, v10
	v_fmac_f32_e32 v38, v128, v12
	v_fma_f32 v40, v128, v13, -v39
	v_cvt_f32_f64_e32 v17, v[18:19]
	v_cvt_f64_f32_e32 v[34:35], v36
	v_mul_f32_e32 v36, v127, v5
	v_fma_f32 v10, v130, v11, -v10
	v_cvt_f32_f64_e32 v14, v[14:15]
	v_cvt_f32_f64_e32 v15, v[20:21]
	v_cvt_f64_f32_e32 v[32:33], v32
	v_fmac_f32_e32 v36, v126, v4
	v_cvt_f64_f32_e32 v[10:11], v10
	v_cvt_f64_f32_e32 v[38:39], v38
	;; [unrolled: 1-line block ×3, first 2 shown]
	v_add_co_u32 v18, s0, v30, s4
	v_mul_f64 v[8:9], v[8:9], s[2:3]
	v_cvt_f64_f32_e32 v[12:13], v36
	v_cvt_f64_f32_e32 v[36:37], v37
	v_add_co_ci_u32_e64 v19, s0, s5, v31, s0
	v_add_co_u32 v20, s0, v18, s6
	v_mul_f64 v[2:3], v[2:3], s[2:3]
	v_add_co_ci_u32_e64 v21, s0, s7, v19, s0
	v_add_co_u32 v4, s0, v20, s4
	v_cvt_f32_f64_e32 v24, v[24:25]
	v_add_co_ci_u32_e64 v5, s0, s5, v21, s0
	v_cvt_f32_f64_e32 v25, v[26:27]
	v_add_co_u32 v26, s0, v4, s6
	global_store_dwordx2 v[30:31], v[6:7], off
	global_store_dwordx2 v[18:19], v[16:17], off
	;; [unrolled: 1-line block ×4, first 2 shown]
	v_mul_f64 v[32:33], v[32:33], s[2:3]
	v_mul_f64 v[34:35], v[34:35], s[2:3]
	;; [unrolled: 1-line block ×3, first 2 shown]
	v_cvt_f32_f64_e32 v4, v[8:9]
	v_add_co_ci_u32_e64 v27, s0, s7, v5, s0
	v_mul_f64 v[12:13], v[12:13], s[2:3]
	v_mul_f64 v[36:37], v[36:37], s[2:3]
	;; [unrolled: 1-line block ×4, first 2 shown]
	v_add_co_u32 v44, s0, v26, s4
	v_add_co_ci_u32_e64 v45, s0, s5, v27, s0
	v_cvt_f32_f64_e32 v28, v[28:29]
	v_cvt_f32_f64_e32 v29, v[2:3]
	v_mad_u64_u32 v[46:47], null, s9, v172, v[43:44]
	v_mad_u64_u32 v[2:3], null, 0x1c0, s8, v[44:45]
	global_store_dwordx2 v[26:27], v[24:25], off
	global_store_dwordx2 v[44:45], v[28:29], off
	v_mad_u64_u32 v[8:9], null, 0x1c0, s9, v[3:4]
	v_cvt_f32_f64_e32 v5, v[32:33]
	v_mov_b32_e32 v43, v46
	v_cvt_f32_f64_e32 v6, v[34:35]
	v_cvt_f32_f64_e32 v7, v[10:11]
	v_cvt_f32_f64_e32 v9, v[12:13]
	v_cvt_f32_f64_e32 v10, v[36:37]
	v_cvt_f32_f64_e32 v11, v[38:39]
	v_cvt_f32_f64_e32 v12, v[40:41]
	v_mov_b32_e32 v3, v8
	v_lshlrev_b64 v[13:14], 3, v[42:43]
	v_add_co_u32 v15, s0, v2, s6
	v_add_co_ci_u32_e64 v16, s0, s7, v3, s0
	v_add_co_u32 v13, s0, v0, v13
	v_add_co_ci_u32_e64 v14, s0, v1, v14, s0
	;; [unrolled: 2-line block ×3, first 2 shown]
	global_store_dwordx2 v[13:14], v[4:5], off
	global_store_dwordx2 v[2:3], v[6:7], off
	;; [unrolled: 1-line block ×4, first 2 shown]
	s_and_b32 exec_lo, exec_lo, vcc_lo
	s_cbranch_execz .LBB0_31
; %bb.30:
	global_load_dwordx2 v[2:3], v[120:121], off offset:384
	ds_read_b64 v[4:5], v171 offset:4480
	ds_read_b64 v[6:7], v171 offset:9184
	v_add_co_u32 v0, vcc_lo, v0, s6
	v_add_co_ci_u32_e32 v1, vcc_lo, s7, v1, vcc_lo
	s_waitcnt vmcnt(0) lgkmcnt(1)
	v_mul_f32_e32 v8, v5, v3
	v_mul_f32_e32 v3, v4, v3
	v_fmac_f32_e32 v8, v4, v2
	v_fma_f32 v4, v2, v5, -v3
	v_cvt_f64_f32_e32 v[2:3], v8
	v_cvt_f64_f32_e32 v[4:5], v4
	v_mul_f64 v[2:3], v[2:3], s[2:3]
	v_mul_f64 v[4:5], v[4:5], s[2:3]
	v_cvt_f32_f64_e32 v2, v[2:3]
	v_cvt_f32_f64_e32 v3, v[4:5]
	global_store_dwordx2 v[0:1], v[2:3], off
	global_load_dwordx2 v[2:3], v[122:123], off offset:992
	v_add_co_u32 v0, vcc_lo, v0, s4
	v_add_co_ci_u32_e32 v1, vcc_lo, s5, v1, vcc_lo
	s_waitcnt vmcnt(0) lgkmcnt(0)
	v_mul_f32_e32 v4, v7, v3
	v_mul_f32_e32 v3, v6, v3
	v_fmac_f32_e32 v4, v6, v2
	v_fma_f32 v5, v2, v7, -v3
	v_cvt_f64_f32_e32 v[2:3], v4
	v_cvt_f64_f32_e32 v[4:5], v5
	v_mul_f64 v[2:3], v[2:3], s[2:3]
	v_mul_f64 v[4:5], v[4:5], s[2:3]
	v_cvt_f32_f64_e32 v2, v[2:3]
	v_cvt_f32_f64_e32 v3, v[4:5]
	global_store_dwordx2 v[0:1], v[2:3], off
.LBB0_31:
	s_endpgm
	.section	.rodata,"a",@progbits
	.p2align	6, 0x0
	.amdhsa_kernel bluestein_single_fwd_len1176_dim1_sp_op_CI_CI
		.amdhsa_group_segment_fixed_size 9408
		.amdhsa_private_segment_fixed_size 0
		.amdhsa_kernarg_size 104
		.amdhsa_user_sgpr_count 6
		.amdhsa_user_sgpr_private_segment_buffer 1
		.amdhsa_user_sgpr_dispatch_ptr 0
		.amdhsa_user_sgpr_queue_ptr 0
		.amdhsa_user_sgpr_kernarg_segment_ptr 1
		.amdhsa_user_sgpr_dispatch_id 0
		.amdhsa_user_sgpr_flat_scratch_init 0
		.amdhsa_user_sgpr_private_segment_size 0
		.amdhsa_wavefront_size32 1
		.amdhsa_uses_dynamic_stack 0
		.amdhsa_system_sgpr_private_segment_wavefront_offset 0
		.amdhsa_system_sgpr_workgroup_id_x 1
		.amdhsa_system_sgpr_workgroup_id_y 0
		.amdhsa_system_sgpr_workgroup_id_z 0
		.amdhsa_system_sgpr_workgroup_info 0
		.amdhsa_system_vgpr_workitem_id 0
		.amdhsa_next_free_vgpr 252
		.amdhsa_next_free_sgpr 18
		.amdhsa_reserve_vcc 1
		.amdhsa_reserve_flat_scratch 0
		.amdhsa_float_round_mode_32 0
		.amdhsa_float_round_mode_16_64 0
		.amdhsa_float_denorm_mode_32 3
		.amdhsa_float_denorm_mode_16_64 3
		.amdhsa_dx10_clamp 1
		.amdhsa_ieee_mode 1
		.amdhsa_fp16_overflow 0
		.amdhsa_workgroup_processor_mode 1
		.amdhsa_memory_ordered 1
		.amdhsa_forward_progress 0
		.amdhsa_shared_vgpr_count 0
		.amdhsa_exception_fp_ieee_invalid_op 0
		.amdhsa_exception_fp_denorm_src 0
		.amdhsa_exception_fp_ieee_div_zero 0
		.amdhsa_exception_fp_ieee_overflow 0
		.amdhsa_exception_fp_ieee_underflow 0
		.amdhsa_exception_fp_ieee_inexact 0
		.amdhsa_exception_int_div_zero 0
	.end_amdhsa_kernel
	.text
.Lfunc_end0:
	.size	bluestein_single_fwd_len1176_dim1_sp_op_CI_CI, .Lfunc_end0-bluestein_single_fwd_len1176_dim1_sp_op_CI_CI
                                        ; -- End function
	.section	.AMDGPU.csdata,"",@progbits
; Kernel info:
; codeLenInByte = 20544
; NumSgprs: 20
; NumVgprs: 252
; ScratchSize: 0
; MemoryBound: 0
; FloatMode: 240
; IeeeMode: 1
; LDSByteSize: 9408 bytes/workgroup (compile time only)
; SGPRBlocks: 2
; VGPRBlocks: 31
; NumSGPRsForWavesPerEU: 20
; NumVGPRsForWavesPerEU: 252
; Occupancy: 4
; WaveLimiterHint : 1
; COMPUTE_PGM_RSRC2:SCRATCH_EN: 0
; COMPUTE_PGM_RSRC2:USER_SGPR: 6
; COMPUTE_PGM_RSRC2:TRAP_HANDLER: 0
; COMPUTE_PGM_RSRC2:TGID_X_EN: 1
; COMPUTE_PGM_RSRC2:TGID_Y_EN: 0
; COMPUTE_PGM_RSRC2:TGID_Z_EN: 0
; COMPUTE_PGM_RSRC2:TIDIG_COMP_CNT: 0
	.text
	.p2alignl 6, 3214868480
	.fill 48, 4, 3214868480
	.type	__hip_cuid_c5c2bfed9404bb88,@object ; @__hip_cuid_c5c2bfed9404bb88
	.section	.bss,"aw",@nobits
	.globl	__hip_cuid_c5c2bfed9404bb88
__hip_cuid_c5c2bfed9404bb88:
	.byte	0                               ; 0x0
	.size	__hip_cuid_c5c2bfed9404bb88, 1

	.ident	"AMD clang version 19.0.0git (https://github.com/RadeonOpenCompute/llvm-project roc-6.4.0 25133 c7fe45cf4b819c5991fe208aaa96edf142730f1d)"
	.section	".note.GNU-stack","",@progbits
	.addrsig
	.addrsig_sym __hip_cuid_c5c2bfed9404bb88
	.amdgpu_metadata
---
amdhsa.kernels:
  - .args:
      - .actual_access:  read_only
        .address_space:  global
        .offset:         0
        .size:           8
        .value_kind:     global_buffer
      - .actual_access:  read_only
        .address_space:  global
        .offset:         8
        .size:           8
        .value_kind:     global_buffer
      - .actual_access:  read_only
        .address_space:  global
        .offset:         16
        .size:           8
        .value_kind:     global_buffer
      - .actual_access:  read_only
        .address_space:  global
        .offset:         24
        .size:           8
        .value_kind:     global_buffer
      - .actual_access:  read_only
        .address_space:  global
        .offset:         32
        .size:           8
        .value_kind:     global_buffer
      - .offset:         40
        .size:           8
        .value_kind:     by_value
      - .address_space:  global
        .offset:         48
        .size:           8
        .value_kind:     global_buffer
      - .address_space:  global
        .offset:         56
        .size:           8
        .value_kind:     global_buffer
      - .address_space:  global
        .offset:         64
        .size:           8
        .value_kind:     global_buffer
      - .address_space:  global
        .offset:         72
        .size:           8
        .value_kind:     global_buffer
      - .offset:         80
        .size:           4
        .value_kind:     by_value
      - .address_space:  global
        .offset:         88
        .size:           8
        .value_kind:     global_buffer
      - .address_space:  global
        .offset:         96
        .size:           8
        .value_kind:     global_buffer
    .group_segment_fixed_size: 9408
    .kernarg_segment_align: 8
    .kernarg_segment_size: 104
    .language:       OpenCL C
    .language_version:
      - 2
      - 0
    .max_flat_workgroup_size: 56
    .name:           bluestein_single_fwd_len1176_dim1_sp_op_CI_CI
    .private_segment_fixed_size: 0
    .sgpr_count:     20
    .sgpr_spill_count: 0
    .symbol:         bluestein_single_fwd_len1176_dim1_sp_op_CI_CI.kd
    .uniform_work_group_size: 1
    .uses_dynamic_stack: false
    .vgpr_count:     252
    .vgpr_spill_count: 0
    .wavefront_size: 32
    .workgroup_processor_mode: 1
amdhsa.target:   amdgcn-amd-amdhsa--gfx1030
amdhsa.version:
  - 1
  - 2
...

	.end_amdgpu_metadata
